;; amdgpu-corpus repo=ROCm/aiter kind=harvested arch=n/a opt=n/a

/root/src/amdgpu-assembly/repos/ROCm__aiter/hsa/gfx942/fmha_v3_bwd/bwd_hd128_fp16_causal_a16.co:	file format elf64-amdgpu

Disassembly of section .text:

0000000000003e00 <_ZN5aiter30fmha_bwd_hd128_fp16_causal_a16E>:
	s_and_b32 s1, s1, 0xffff                                   // 000000003E00: 8601FF01 0000FFFF
	s_load_dwordx2 s[32:33], s[0:1], 0x0                       // 000000003E08: C0060800 00000000
	s_load_dwordx2 s[36:37], s[0:1], 0x10                      // 000000003E10: C0060900 00000010
	s_load_dwordx2 s[40:41], s[0:1], 0x20                      // 000000003E18: C0060A00 00000020
	s_load_dwordx2 s[8:9], s[0:1], 0x30                        // 000000003E20: C0060200 00000030
	s_load_dwordx2 s[12:13], s[0:1], 0x40                      // 000000003E28: C0060300 00000040
	s_load_dwordx2 s[16:17], s[0:1], 0x50                      // 000000003E30: C0060400 00000050
	s_load_dwordx2 s[20:21], s[0:1], 0x60                      // 000000003E38: C0060500 00000060
	s_load_dwordx2 s[24:25], s[0:1], 0x70                      // 000000003E40: C0060600 00000070
	s_load_dwordx2 s[28:29], s[0:1], 0x80                      // 000000003E48: C0060700 00000080
	s_load_dword s48, s[0:1], 0x90                             // 000000003E50: C0020C00 00000090
	s_load_dword s49, s[0:1], 0xa0                             // 000000003E58: C0020C40 000000A0
	s_load_dword s50, s[0:1], 0xb0                             // 000000003E60: C0020C80 000000B0
	s_load_dword s51, s[0:1], 0xc0                             // 000000003E68: C0020CC0 000000C0
	s_load_dword s52, s[0:1], 0xd0                             // 000000003E70: C0020D00 000000D0
	s_load_dword s53, s[0:1], 0xe0                             // 000000003E78: C0020D40 000000E0
	s_load_dword s70, s[0:1], 0xf0                             // 000000003E80: C0021180 000000F0
	s_load_dword s44, s[0:1], 0x100                            // 000000003E88: C0020B00 00000100
	s_load_dword s5, s[0:1], 0x110                             // 000000003E90: C0020140 00000110
	s_load_dword s6, s[0:1], 0x120                             // 000000003E98: C0020180 00000120
	s_load_dword s7, s[0:1], 0x130                             // 000000003EA0: C00201C0 00000130
	s_load_dword s46, s[0:1], 0x140                            // 000000003EA8: C0020B80 00000140
	s_load_dword s91, s[0:1], 0x180                            // 000000003EB0: C00216C0 00000180
	s_load_dword s90, s[0:1], 0x240                            // 000000003EB8: C0021680 00000240
	v_lshrrev_b32_e32 v1, 10, v0                               // 000000003EC0: 2002008A
	v_lshrrev_b32_e32 v2, 10, v1                               // 000000003EC4: 2004028A
	v_and_b32_e32 v2, 0x3ff, v2                                // 000000003EC8: 260404FF 000003FF
	v_and_b32_e32 v1, 0x3ff, v1                                // 000000003ED0: 260202FF 000003FF
	v_and_b32_e32 v0, 0x3ff, v0                                // 000000003ED8: 260000FF 000003FF
	v_lshrrev_b32_e32 v3, 6, v0                                // 000000003EE0: 20060086
	v_and_b32_e32 v0, 63, v0                                   // 000000003EE4: 260000BF
	s_mov_b32 s2, s2                                           // 000000003EE8: BE820002
	s_mov_b32 s3, s3                                           // 000000003EEC: BE830003
	s_mov_b32 s4, s4                                           // 000000003EF0: BE840004
	v_readfirstlane_b32 s47, v3                                // 000000003EF4: 7E5E0503
	s_waitcnt lgkmcnt(0)                                       // 000000003EF8: BF8CC07F
	s_mov_b32 s10, 0x80000000                                  // 000000003EFC: BE8A00FF 80000000
	s_mov_b32 s14, 0x80000000                                  // 000000003F04: BE8E00FF 80000000
	s_mov_b32 s18, 0x80000000                                  // 000000003F0C: BE9200FF 80000000
	s_mov_b32 s22, 0x80000000                                  // 000000003F14: BE9600FF 80000000
	s_mov_b32 s26, 0x80000000                                  // 000000003F1C: BE9A00FF 80000000
	s_mov_b32 s30, 0x80000000                                  // 000000003F24: BE9E00FF 80000000
	s_mov_b32 s34, 0x80000000                                  // 000000003F2C: BEA200FF 80000000
	s_mov_b32 s38, 0x80000000                                  // 000000003F34: BEA600FF 80000000
	s_mov_b32 s42, 0x80000000                                  // 000000003F3C: BEAA00FF 80000000
	s_mov_b32 s11, 0x20000                                     // 000000003F44: BE8B00FF 00020000
	s_mov_b32 s15, 0x20000                                     // 000000003F4C: BE8F00FF 00020000
	s_mov_b32 s19, 0x20000                                     // 000000003F54: BE9300FF 00020000
	s_mov_b32 s23, 0x20000                                     // 000000003F5C: BE9700FF 00020000
	s_mov_b32 s27, 0x20000                                     // 000000003F64: BE9B00FF 00020000
	s_mov_b32 s31, 0x20000                                     // 000000003F6C: BE9F00FF 00020000
	s_mov_b32 s35, 0x20000                                     // 000000003F74: BEA300FF 00020000
	s_mov_b32 s39, 0x20000                                     // 000000003F7C: BEA700FF 00020000
	s_mov_b32 s43, 0x20000                                     // 000000003F84: BEAB00FF 00020000
	s_and_b32 s9, s9, 0xffff                                   // 000000003F8C: 8609FF09 0000FFFF
	s_and_b32 s13, s13, 0xffff                                 // 000000003F94: 860DFF0D 0000FFFF
	s_and_b32 s17, s17, 0xffff                                 // 000000003F9C: 8611FF11 0000FFFF
	s_and_b32 s21, s21, 0xffff                                 // 000000003FA4: 8615FF15 0000FFFF
	s_and_b32 s25, s25, 0xffff                                 // 000000003FAC: 8619FF19 0000FFFF
	s_and_b32 s29, s29, 0xffff                                 // 000000003FB4: 861DFF1D 0000FFFF
	s_and_b32 s33, s33, 0xffff                                 // 000000003FBC: 8621FF21 0000FFFF
	s_and_b32 s37, s37, 0xffff                                 // 000000003FC4: 8625FF25 0000FFFF
	s_and_b32 s41, s41, 0xffff                                 // 000000003FCC: 8629FF29 0000FFFF
	s_or_b32 s9, s9, 0x40000                                   // 000000003FD4: 8709FF09 00040000
	s_or_b32 s13, s13, 0x40000                                 // 000000003FDC: 870DFF0D 00040000
	s_or_b32 s17, s17, 0x40000                                 // 000000003FE4: 8711FF11 00040000
	s_or_b32 s21, s21, 0x40000                                 // 000000003FEC: 8715FF15 00040000
	s_or_b32 s25, s25, 0x40000                                 // 000000003FF4: 8719FF19 00040000
	s_or_b32 s29, s29, 0x40000                                 // 000000003FFC: 871DFF1D 00040000
	s_or_b32 s33, s33, 0x40000                                 // 000000004004: 8721FF21 00040000
	s_or_b32 s37, s37, 0x40000                                 // 00000000400C: 8725FF25 00040000
	s_or_b32 s41, s41, 0x40000                                 // 000000004014: 8729FF29 00040000
	v_accvgpr_write_b32 a255, 0                                // 00000000401C: D3D940FF 18000080
	v_mov_b32_e32 v247, 0                                      // 000000004024: 7FEE0280
	s_mov_b32 s80, s8                                          // 000000004028: BED00008
	s_mov_b32 s82, s12                                         // 00000000402C: BED2000C
	s_mov_b32 s84, s16                                         // 000000004030: BED40010
	s_mov_b32 s86, s20                                         // 000000004034: BED60014
	s_mov_b32 s88, s32                                         // 000000004038: BED80020
	s_mov_b32 s81, s9                                          // 00000000403C: BED10009
	s_mov_b32 s83, s13                                         // 000000004040: BED3000D
	s_mov_b32 s85, s17                                         // 000000004044: BED50011
	s_mov_b32 s87, s21                                         // 000000004048: BED70015
	s_mov_b32 s89, s33                                         // 00000000404C: BED90021
	s_mov_b32 s71, s3                                          // 000000004050: BEC70003
	v_cvt_f32_u32_e32 v28, s44                                 // 000000004054: 7E380C2C
	s_sub_i32 s60, 0, s44                                      // 000000004058: 81BC2C80
	v_rcp_iflag_f32_e32 v28, v28                               // 00000000405C: 7E38471C
	s_nop 0                                                    // 000000004060: BF800000
	v_mul_f32_e32 v28, 0x4f7ffffe, v28                         // 000000004064: 0A3838FF 4F7FFFFE
	v_cvt_u32_f32_e32 v28, v28                                 // 00000000406C: 7E380F1C
	v_mul_lo_u32 v29, s60, v28                                 // 000000004070: D285001D 0002383C
	v_mul_hi_u32 v29, v28, v29                                 // 000000004078: D286001D 00023B1C
	v_add_u32_e32 v28, v28, v29                                // 000000004080: 68383B1C
	v_mul_hi_u32 v28, s71, v28                                 // 000000004084: D286001C 00023847
	v_mul_lo_u32 v29, v28, s44                                 // 00000000408C: D285001D 0000591C
	v_sub_u32_e32 v31, s71, v29                                // 000000004094: 6A3E3A47
	v_add_u32_e32 v30, 1, v28                                  // 000000004098: 683C3881
	v_cmp_le_u32_e32 vcc, s44, v31                             // 00000000409C: 7D963E2C
	v_subrev_u32_e32 v29, s44, v31                             // 0000000040A0: 6C3A3E2C
	s_nop 0                                                    // 0000000040A4: BF800000
	v_cndmask_b32_e32 v28, v28, v30, vcc                       // 0000000040A8: 00383D1C
	v_cndmask_b32_e32 v31, v31, v29, vcc                       // 0000000040AC: 003E3B1F
	v_add_u32_e32 v29, 1, v28                                  // 0000000040B0: 683A3881
	v_cmp_le_u32_e32 vcc, s44, v31                             // 0000000040B4: 7D963E2C
	s_nop 1                                                    // 0000000040B8: BF800001
	v_cndmask_b32_e32 v31, v28, v29, vcc                       // 0000000040BC: 003E3B1C
	s_nop 3                                                    // 0000000040C0: BF800003
	v_readfirstlane_b32 s45, v31                               // 0000000040C4: 7E5A051F
	s_nop 3                                                    // 0000000040C8: BF800003
	s_add_u32 s71, 0x80, s50                                   // 0000000040CC: 804732FF 00000080
	s_mov_b32 s74, 0xc0                                        // 0000000040D4: BECA00FF 000000C0
	v_cvt_f32_u32_e32 v28, s74                                 // 0000000040DC: 7E380C4A
	s_sub_i32 s60, 0, s74                                      // 0000000040E0: 81BC4A80
	v_rcp_iflag_f32_e32 v28, v28                               // 0000000040E4: 7E38471C
	s_nop 0                                                    // 0000000040E8: BF800000
	v_mul_f32_e32 v28, 0x4f7ffffe, v28                         // 0000000040EC: 0A3838FF 4F7FFFFE
	v_cvt_u32_f32_e32 v28, v28                                 // 0000000040F4: 7E380F1C
	v_mul_lo_u32 v29, s60, v28                                 // 0000000040F8: D285001D 0002383C
	v_mul_hi_u32 v29, v28, v29                                 // 000000004100: D286001D 00023B1C
	v_add_u32_e32 v28, v28, v29                                // 000000004108: 68383B1C
	v_mul_hi_u32 v28, s71, v28                                 // 00000000410C: D286001C 00023847
	v_mul_lo_u32 v29, v28, s74                                 // 000000004114: D285001D 0000951C
	v_sub_u32_e32 v31, s71, v29                                // 00000000411C: 6A3E3A47
	v_add_u32_e32 v30, 1, v28                                  // 000000004120: 683C3881
	v_cmp_le_u32_e32 vcc, s74, v31                             // 000000004124: 7D963E4A
	v_subrev_u32_e32 v29, s74, v31                             // 000000004128: 6C3A3E4A
	s_nop 0                                                    // 00000000412C: BF800000
	v_cndmask_b32_e32 v28, v28, v30, vcc                       // 000000004130: 00383D1C
	v_cndmask_b32_e32 v31, v31, v29, vcc                       // 000000004134: 003E3B1F
	v_add_u32_e32 v29, 1, v28                                  // 000000004138: 683A3881
	v_cmp_le_u32_e32 vcc, s74, v31                             // 00000000413C: 7D963E4A
	s_nop 1                                                    // 000000004140: BF800001
	v_cndmask_b32_e32 v31, v28, v29, vcc                       // 000000004144: 003E3B1C
	s_nop 3                                                    // 000000004148: BF800003
	v_readfirstlane_b32 s77, v31                               // 00000000414C: 7E9A051F
	s_nop 3                                                    // 000000004150: BF800003
	v_mov_b32_e32 v28, s48                                     // 000000004154: 7E380230
	v_mul_f32_e32 v28, s49, v28                                // 000000004158: 0A383831
	s_mov_b32 s66, 0                                           // 00000000415C: BEC20080
	s_mov_b32 s58, s50                                         // 000000004160: BEBA0032
	s_mov_b32 s59, 0                                           // 000000004164: BEBB0080
	s_mov_b32 s63, 0x5040100                                   // 000000004168: BEBF00FF 05040100
	s_mov_b32 s64, 0x7060302                                   // 000000004170: BEC000FF 07060302
	v_readfirstlane_b32 s57, v28                               // 000000004178: 7E72051C
	v_mov_b32_e32 v30, 0x3020706                               // 00000000417C: 7E3C02FF 03020706
	v_mov_b32_e32 v28, s63                                     // 000000004184: 7E38023F
	v_and_b32_e32 v29, 1, v0                                   // 000000004188: 263A0081
	v_cmp_eq_u32_e32 vcc, 1, v29                               // 00000000418C: 7D943A81
	s_mul_i32 s67, 16, s70                                     // 000000004190: 92434690
	v_cndmask_b32_e32 v15, v28, v30, vcc                       // 000000004194: 001E3D1C
	s_cmp_lt_u32 s47, 2                                        // 000000004198: BF0A822F
	s_cselect_b32 s24, s24, s28                                // 00000000419C: 85181C18
	s_cselect_b32 s25, s25, s29                                // 0000000041A0: 85191D19
	s_cselect_b32 s26, s26, s30                                // 0000000041A4: 851A1E1A
	s_cselect_b32 s27, s27, s31                                // 0000000041A8: 851B1F1B
	s_lshr_b32 s60, s47, 1                                     // 0000000041AC: 8F3C812F
	s_lshl_b32 s60, s60, 8                                     // 0000000041B0: 8E3C883C
	s_add_u32 s78, 0xc600, s60                                 // 0000000041B4: 804E3CFF 0000C600
	s_add_u32 s79, 0x200, s78                                  // 0000000041BC: 804F4EFF 00000200
	s_mov_b32 s75, 0                                           // 0000000041C4: BECB0080
	s_mov_b32 s76, 1                                           // 0000000041C8: BECC0081
	s_lshl_b32 s60, s2, 1                                      // 0000000041CC: 8E3C8102
	s_add_u32 s60, 1, s60                                      // 0000000041D0: 803C3C81
	s_mul_i32 s60, 0xc0, s60                                   // 0000000041D4: 923C3CFF 000000C0
	s_cmp_ge_i32 s60, s50                                      // 0000000041DC: BF03323C
	s_cselect_b32 s76, s76, 2                                  // 0000000041E0: 854C824C

00000000000041e4 <label_00F9>:
	s_mov_b32 m0, s78                                          // 0000000041E4: BEFC004E
	s_mov_b32 s66, 0                                           // 0000000041E8: BEC20080
	v_mov_b32_e32 v151, 0xff800000                             // 0000000041EC: 7F2E02FF FF800000
	s_mov_b32 s74, 0                                           // 0000000041F4: BECA0080
	s_mul_i32 s68, 16, s70                                     // 0000000041F8: 92444690
	s_mov_b32 s69, 16                                          // 0000000041FC: BEC50090
	s_mul_i32 s60, s2, s51                                     // 000000004200: 923C3302
	s_mul_i32 s61, s45, s5                                     // 000000004204: 923D052D
	s_mul_i32 s62, s4, s6                                      // 000000004208: 923E0604
	s_add_u32 s54, s60, s61                                    // 00000000420C: 80363D3C
	s_add_u32 s54, s54, s62                                    // 000000004210: 80363E36
	s_mul_i32 s61, s3, s52                                     // 000000004214: 923D3403
	s_mul_i32 s62, s4, s53                                     // 000000004218: 923E3504
	s_add_u32 s55, s61, s62                                    // 00000000421C: 80373E3D
	s_mul_i32 s60, 0xc0, s2                                    // 000000004220: 923C02FF 000000C0
	s_mul_i32 s60, s70, s60                                    // 000000004228: 923C3C46
	s_add_u32 s55, s60, s55                                    // 00000000422C: 8037373C
	s_mov_b32 s56, s55                                         // 000000004230: BEB80037
	s_mul_i32 s59, 0xc0, s2                                    // 000000004234: 923B02FF 000000C0
	s_add_u32 s73, 16, s59                                     // 00000000423C: 80493B90
	s_mul_i32 s62, s4, s91                                     // 000000004240: 923E5B04
	s_mul_i32 s62, s62, s90                                    // 000000004244: 923E5A3E
	s_mul_i32 s61, s3, s90                                     // 000000004248: 923D5A03
	s_add_u32 s65, s61, s62                                    // 00000000424C: 80413E3D
	s_mul_i32 s60, 0x300, s2                                   // 000000004250: 923C02FF 00000300
	s_add_u32 s65, s60, s65                                    // 000000004258: 8041413C
	s_mov_b32 s71, s7                                          // 00000000425C: BEC70007
	v_lshrrev_b32_e32 v28, 4, v0                               // 000000004260: 20380084
	v_and_b32_e32 v29, 1, v28                                  // 000000004264: 263A3881
	v_lshlrev_b32_e32 v29, 1, v29                              // 000000004268: 243A3A81
	v_mul_i32_i24_e32 v29, s71, v29                            // 00000000426C: 0C3A3A47
	v_and_b32_e32 v30, 2, v28                                  // 000000004270: 263C3882
	v_lshlrev_b32_e32 v30, 5, v30                              // 000000004274: 243C3C85
	v_add_u32_e32 v29, v30, v29                                // 000000004278: 683A3B1E
	v_and_b32_e32 v28, 15, v0                                  // 00000000427C: 2638008F
	v_lshlrev_b32_e32 v28, 2, v28                              // 000000004280: 24383882
	v_add_u32_e32 v1, v28, v29                                 // 000000004284: 68023B1C
	s_and_b32 s60, 1, s47                                      // 000000004288: 863C2F81
	s_mul_i32 s60, s60, s71                                    // 00000000428C: 923C473C
	s_mul_i32 s60, s60, 8                                      // 000000004290: 923C883C
	s_lshr_b32 s61, s47, 1                                     // 000000004294: 8F3D812F
	s_mul_i32 s61, s61, 0x80                                   // 000000004298: 923DFF3D 00000080
	s_add_u32 s60, s60, s61                                    // 0000000042A0: 803C3D3C
	v_add_u32_e32 v1, s60, v1                                  // 0000000042A4: 6802023C
	v_add_u32_e32 v2, s71, v1                                  // 0000000042A8: 68040247
	s_mul_i32 s60, 4, s71                                      // 0000000042AC: 923C4784
	v_add_u32_e32 v3, s60, v1                                  // 0000000042B0: 6806023C
	v_add_u32_e32 v4, s60, v2                                  // 0000000042B4: 6808043C
	v_lshrrev_b32_e32 v1, 2, v1                                // 0000000042B8: 20020282
	v_lshrrev_b32_e32 v2, 2, v2                                // 0000000042BC: 20040482
	v_lshrrev_b32_e32 v3, 2, v3                                // 0000000042C0: 20060682
	v_lshrrev_b32_e32 v4, 2, v4                                // 0000000042C4: 20080882
	s_add_u32 s12, s54, s82                                    // 0000000042C8: 800C5236
	s_addc_u32 s13, 0, s83                                     // 0000000042CC: 820D5380
	s_add_u32 s16, s54, s84                                    // 0000000042D0: 80105436
	s_addc_u32 s17, 0, s85                                     // 0000000042D4: 82115580
	s_add_u32 s8, s55, s80                                     // 0000000042D8: 80085037
	s_addc_u32 s9, 0, s81                                      // 0000000042DC: 82095180
	s_add_u32 s20, s56, s86                                    // 0000000042E0: 80145638
	s_addc_u32 s21, 0, s87                                     // 0000000042E4: 82155780
	v_and_b32_e32 v9, 15, v0                                   // 0000000042E8: 2612008F
	v_lshlrev_b32_e32 v9, 2, v9                                // 0000000042EC: 24121282
	v_add_u32_e32 v9, s65, v9                                  // 0000000042F0: 68121241
	v_lshrrev_b32_e32 v9, 2, v9                                // 0000000042F4: 20121282
	v_lshrrev_b32_e32 v28, 4, v0                               // 0000000042F8: 20380084
	v_mul_i32_i24_e32 v5, s46, v28                             // 0000000042FC: 0C0A382E
	v_lshrrev_b32_e32 v5, 2, v5                                // 000000004300: 200A0A82
	v_and_b32_e32 v28, 15, v0                                  // 000000004304: 2638008F
	v_lshlrev_b32_e32 v29, 2, v28                              // 000000004308: 243A3882
	v_add_u32_e32 v5, v29, v5                                  // 00000000430C: 680A0B1D
	s_mul_i32 s60, 16, s46                                     // 000000004310: 923C2E90
	s_mul_i32 s60, s47, s60                                    // 000000004314: 923C3C2F
	v_lshlrev_b32_e32 v5, 2, v5                                // 000000004318: 240A0A82
	v_add_u32_e32 v5, s60, v5                                  // 00000000431C: 680A0A3C
	s_mul_i32 s60, 0xc0, s46                                   // 000000004320: 923C2EFF 000000C0
	s_mul_i32 s60, s2, s60                                     // 000000004328: 923C3C02
	s_mul_i32 s61, s3, s5                                      // 00000000432C: 923D0503
	s_mul_i32 s62, s4, s6                                      // 000000004330: 923E0604
	s_mul_i32 s62, s62, s44                                    // 000000004334: 923E2C3E
	s_add_u32 s60, s60, s61                                    // 000000004338: 803C3D3C
	s_add_u32 s60, s60, s62                                    // 00000000433C: 803C3E3C
	v_add_u32_e32 v5, s60, v5                                  // 000000004340: 680A0A3C
	v_lshrrev_b32_e32 v5, 2, v5                                // 000000004344: 200A0A82
	v_mov_b32_e32 v6, v5                                       // 000000004348: 7E0C0305
	v_lshrrev_b32_e32 v28, 5, v0                               // 00000000434C: 20380085
	v_mul_i32_i24_e32 v7, s70, v28                             // 000000004350: 0C0E3846
	v_lshrrev_b32_e32 v7, 2, v7                                // 000000004354: 200E0E82
	v_and_b32_e32 v28, 31, v0                                  // 000000004358: 2638009F
	v_add_u32_e32 v7, v28, v7                                  // 00000000435C: 680E0F1C
	s_mul_i32 s60, s47, s70                                    // 000000004360: 923C462F
	v_add_u32_e32 v7, s60, v7                                  // 000000004364: 680E0E3C
	v_lshlrev_b32_e32 v7, 2, v7                                // 000000004368: 240E0E82
	s_mul_i32 s60, 2, s70                                      // 00000000436C: 923C4682
	v_add_u32_e32 v8, s60, v7                                  // 000000004370: 68100E3C
	s_mov_b32 s60, s55                                         // 000000004374: BEBC0037
	v_add_u32_e32 v7, s60, v7                                  // 000000004378: 680E0E3C
	v_lshrrev_b32_e32 v7, 2, v7                                // 00000000437C: 200E0E82
	v_add_u32_e32 v8, s60, v8                                  // 000000004380: 6810103C
	v_lshrrev_b32_e32 v8, 2, v8                                // 000000004384: 20101082
	s_mul_i32 s60, 3, s2                                       // 000000004388: 923C0283
	s_lshr_b32 s61, s50, 6                                     // 00000000438C: 8F3D8632
	s_sub_i32 s72, s61, s60                                    // 000000004390: 81C83C3D
	s_cmp_lt_i32 s72, 3                                        // 000000004394: BF048348
	s_cselect_b32 s72, s72, 3                                  // 000000004398: 85488348
	v_and_b32_e32 v28, 31, v0                                  // 00000000439C: 2638009F
	v_lshrrev_b32_e32 v28, 1, v28                              // 0000000043A0: 20383881
	v_and_b32_e32 v29, 1, v28                                  // 0000000043A4: 263A3881
	v_lshlrev_b32_e32 v29, 4, v29                              // 0000000043A8: 243A3A84
	v_and_b32_e32 v30, 2, v28                                  // 0000000043AC: 263C3882
	v_lshlrev_b32_e32 v30, 2, v30                              // 0000000043B0: 243C3C82
	v_add_u32_e32 v29, v30, v29                                // 0000000043B4: 683A3B1E
	v_and_b32_e32 v30, 12, v28                                 // 0000000043B8: 263C388C
	v_lshrrev_b32_e32 v30, 1, v30                              // 0000000043BC: 203C3C81
	v_add_u32_e32 v29, v30, v29                                // 0000000043C0: 683A3B1E
	v_lshrrev_b32_e32 v28, 5, v0                               // 0000000043C4: 20380085
	v_mul_i32_i24_e32 v30, 0x80, v28                           // 0000000043C8: 0C3C38FF 00000080
	v_add_u32_e32 v29, v30, v29                                // 0000000043D0: 683A3B1E
	v_and_b32_e32 v30, 1, v0                                   // 0000000043D4: 263C0081
	v_add_u32_e32 v11, v30, v29                                // 0000000043D8: 68163B1E
	s_and_b32 s60, 1, s47                                      // 0000000043DC: 863C2F81
	s_mul_i32 s60, s60, 64                                     // 0000000043E0: 923CC03C
	s_lshr_b32 s61, s47, 1                                     // 0000000043E4: 8F3D812F
	s_mul_i32 s61, s61, 0x220                                  // 0000000043E8: 923DFF3D 00000220
	s_add_u32 s60, s60, s61                                    // 0000000043F0: 803C3D3C
	v_add_u32_e32 v11, s60, v11                                // 0000000043F4: 6816163C
	v_lshlrev_b32_e32 v11, 2, v11                              // 0000000043F8: 24161682
	v_lshrrev_b32_e32 v28, 4, v0                               // 0000000043FC: 20380084
	v_and_b32_e32 v29, 1, v28                                  // 000000004400: 263A3881
	v_lshlrev_b32_e32 v29, 4, v29                              // 000000004404: 243A3A84
	v_and_b32_e32 v30, 2, v28                                  // 000000004408: 263C3882
	v_mul_i32_i24_e32 v30, 4, v30                              // 00000000440C: 0C3C3C84
	v_add_u32_e32 v29, v30, v29                                // 000000004410: 683A3B1E
	v_and_b32_e32 v28, 15, v0                                  // 000000004414: 2638008F
	v_lshrrev_b32_e32 v30, 2, v28                              // 000000004418: 203C3882
	v_lshlrev_b32_e32 v30, 5, v30                              // 00000000441C: 243C3C85
	v_add_u32_e32 v29, v30, v29                                // 000000004420: 683A3B1E
	v_and_b32_e32 v28, 3, v0                                   // 000000004424: 26380083
	v_and_b32_e32 v30, 1, v28                                  // 000000004428: 263C3881
	v_mul_i32_i24_e32 v30, 0x108, v30                          // 00000000442C: 0C3C3CFF 00000108
	v_add_u32_e32 v29, v30, v29                                // 000000004434: 683A3B1E
	v_and_b32_e32 v30, 2, v28                                  // 000000004438: 263C3882
	v_lshlrev_b32_e32 v30, 1, v30                              // 00000000443C: 243C3C81
	v_add_u32_e32 v10, v30, v29                                // 000000004440: 68143B1E
	v_lshlrev_b32_e32 v10, 2, v10                              // 000000004444: 24141482
	s_mul_i32 s60, s47, 0x1100                                 // 000000004448: 923CFF2F 00001100
	v_add_u32_e32 v22, s60, v10                                // 000000004450: 682C143C
	v_lshrrev_b32_e32 v28, 5, v0                               // 000000004454: 20380085
	v_mul_i32_i24_e32 v13, 0x80, v28                           // 000000004458: 0C1A38FF 00000080
	v_and_b32_e32 v28, 31, v0                                  // 000000004460: 2638009F
	v_and_b32_e32 v29, 7, v28                                  // 000000004464: 263A3887
	v_and_b32_e32 v30, 1, v29                                  // 000000004468: 263C3A81
	v_lshlrev_b32_e32 v30, 2, v30                              // 00000000446C: 243C3C82
	v_add_u32_e32 v13, v30, v13                                // 000000004470: 681A1B1E
	v_and_b32_e32 v30, 2, v29                                  // 000000004474: 263C3A82
	v_lshlrev_b32_e32 v30, 3, v30                              // 000000004478: 243C3C83
	v_add_u32_e32 v13, v30, v13                                // 00000000447C: 681A1B1E
	v_and_b32_e32 v30, 4, v29                                  // 000000004480: 263C3A84
	v_lshlrev_b32_e32 v30, 1, v30                              // 000000004484: 243C3C81
	v_add_u32_e32 v13, v30, v13                                // 000000004488: 681A1B1E
	v_lshrrev_b32_e32 v29, 3, v28                              // 00000000448C: 203A3883
	v_and_b32_e32 v30, 1, v29                                  // 000000004490: 263C3A81
	v_lshlrev_b32_e32 v30, 1, v30                              // 000000004494: 243C3C81
	v_add_u32_e32 v13, v30, v13                                // 000000004498: 681A1B1E
	v_and_b32_e32 v30, 2, v29                                  // 00000000449C: 263C3A82
	v_lshrrev_b32_e32 v30, 1, v30                              // 0000000044A0: 203C3C81
	v_add_u32_e32 v13, v30, v13                                // 0000000044A4: 681A1B1E
	s_and_b32 s60, 1, s47                                      // 0000000044A8: 863C2F81
	s_mul_i32 s60, s60, 64                                     // 0000000044AC: 923CC03C
	s_lshr_b32 s61, s47, 1                                     // 0000000044B0: 8F3D812F
	s_mul_i32 s61, s61, 0x220                                  // 0000000044B4: 923DFF3D 00000220
	s_add_u32 s60, s60, s61                                    // 0000000044BC: 803C3D3C
	v_add_u32_e32 v13, s60, v13                                // 0000000044C0: 681A1A3C
	v_lshlrev_b32_e32 v13, 2, v13                              // 0000000044C4: 241A1A82
	v_and_b32_e32 v28, 15, v0                                  // 0000000044C8: 2638008F
	v_and_b32_e32 v30, 1, v28                                  // 0000000044CC: 263C3881
	v_mul_i32_i24_e32 v12, 0x108, v30                          // 0000000044D0: 0C183CFF 00000108
	v_and_b32_e32 v30, 2, v28                                  // 0000000044D8: 263C3882
	v_lshlrev_b32_e32 v30, 1, v30                              // 0000000044DC: 243C3C81
	v_add_u32_e32 v12, v30, v12                                // 0000000044E0: 6818191E
	v_and_b32_e32 v30, 4, v28                                  // 0000000044E4: 263C3884
	v_lshlrev_b32_e32 v30, 2, v30                              // 0000000044E8: 243C3C82
	v_add_u32_e32 v12, v30, v12                                // 0000000044EC: 6818191E
	v_and_b32_e32 v30, 8, v28                                  // 0000000044F0: 263C3888
	v_add_u32_e32 v12, v30, v12                                // 0000000044F4: 6818191E
	v_lshrrev_b32_e32 v28, 4, v0                               // 0000000044F8: 20380084
	v_and_b32_e32 v30, 1, v28                                  // 0000000044FC: 263C3881
	v_lshlrev_b32_e32 v30, 5, v30                              // 000000004500: 243C3C85
	v_add_u32_e32 v12, v30, v12                                // 000000004504: 6818191E
	v_and_b32_e32 v29, 2, v28                                  // 000000004508: 263A3882
	v_mul_i32_i24_e32 v30, 32, v29                             // 00000000450C: 0C3C3AA0
	v_mul_i32_i24_e32 v29, 0x220, v29                          // 000000004510: 0C3A3AFF 00000220
	v_add_u32_e32 v23, v29, v12                                // 000000004518: 682E191D
	v_add_u32_e32 v12, v30, v12                                // 00000000451C: 6818191E
	v_lshlrev_b32_e32 v12, 2, v12                              // 000000004520: 24181882
	v_lshlrev_b32_e32 v23, 2, v23                              // 000000004524: 242E2E82
	s_and_b32 s60, 1, s47                                      // 000000004528: 863C2F81
	s_mul_i32 s60, s60, 0x200                                  // 00000000452C: 923CFF3C 00000200
	s_lshr_b32 s61, s47, 1                                     // 000000004534: 8F3D812F
	s_mul_i32 s61, s61, 0x880                                  // 000000004538: 923DFF3D 00000880
	s_add_u32 s60, s60, s61                                    // 000000004540: 803C3D3C
	v_add_u32_e32 v23, s60, v23                                // 000000004544: 682E2E3C
	v_lshrrev_b32_e32 v28, 4, v0                               // 000000004548: 20380084
	v_mul_i32_i24_e32 v21, 4, v28                              // 00000000454C: 0C2A3884
	v_and_b32_e32 v29, 3, v0                                   // 000000004550: 263A0083
	v_add_u32_e32 v21, v29, v21                                // 000000004554: 682A2B1D
	v_lshlrev_b32_e32 v21, 2, v21                              // 000000004558: 242A2A82
	v_lshrrev_b32_e32 v28, 5, v0                               // 00000000455C: 20380085
	v_mul_i32_i24_e32 v19, 2, v28                              // 000000004560: 0C263882
	v_and_b32_e32 v28, 31, v0                                  // 000000004564: 2638009F
	v_lshrrev_b32_e32 v28, 1, v28                              // 000000004568: 20383881
	v_mul_i32_i24_e32 v29, 34, v28                             // 00000000456C: 0C3A38A2
	v_add_u32_e32 v19, v29, v19                                // 000000004570: 6826271D
	v_and_b32_e32 v29, 1, v0                                   // 000000004574: 263A0081
	v_add_u32_e32 v19, v29, v19                                // 000000004578: 6826271D
	s_mul_i32 s60, s47, 8                                      // 00000000457C: 923C882F
	v_add_u32_e32 v19, s60, v19                                // 000000004580: 6826263C
	v_lshlrev_b32_e32 v19, 2, v19                              // 000000004584: 24262682
	v_lshrrev_b32_e32 v28, 4, v0                               // 000000004588: 20380084
	v_mul_i32_i24_e32 v20, 34, v28                             // 00000000458C: 0C2838A2
	v_and_b32_e32 v28, 15, v0                                  // 000000004590: 2638008F
	v_mul_i32_i24_e32 v29, 2, v28                              // 000000004594: 0C3A3882
	v_add_u32_e32 v20, v29, v20                                // 000000004598: 6828291D
	s_mul_i32 s60, s47, 0x110                                  // 00000000459C: 923CFF2F 00000110
	v_add_u32_e32 v20, s60, v20                                // 0000000045A4: 6828283C
	v_lshlrev_b32_e32 v20, 2, v20                              // 0000000045A8: 24282882
	v_lshrrev_b32_e32 v28, 5, v0                               // 0000000045AC: 20380085
	v_mul_i32_i24_e32 v17, 64, v28                             // 0000000045B0: 0C2238C0
	v_and_b32_e32 v28, 31, v0                                  // 0000000045B4: 2638009F
	v_and_b32_e32 v28, 3, v28                                  // 0000000045B8: 26383883
	v_and_b32_e32 v29, 1, v28                                  // 0000000045BC: 263A3881
	v_mul_i32_i24_e32 v29, 4, v29                              // 0000000045C0: 0C3A3A84
	v_add_u32_e32 v17, v29, v17                                // 0000000045C4: 6822231D
	v_and_b32_e32 v29, 2, v28                                  // 0000000045C8: 263A3882
	v_mul_i32_i24_e32 v29, 0x44, v29                           // 0000000045CC: 0C3A3AFF 00000044
	v_add_u32_e32 v17, v29, v17                                // 0000000045D4: 6822231D
	v_and_b32_e32 v28, 31, v0                                  // 0000000045D8: 2638009F
	v_lshrrev_b32_e32 v28, 2, v28                              // 0000000045DC: 20383882
	v_lshrrev_b32_e32 v30, 2, v28                              // 0000000045E0: 203C3882
	v_mul_i32_i24_e32 v29, 16, v30                             // 0000000045E4: 0C3A3C90
	v_add_u32_e32 v17, v29, v17                                // 0000000045E8: 6822231D
	v_and_b32_e32 v29, 2, v28                                  // 0000000045EC: 263A3882
	v_lshlrev_b32_e32 v29, 4, v29                              // 0000000045F0: 243A3A84
	v_add_u32_e32 v17, v29, v17                                // 0000000045F4: 6822231D
	v_and_b32_e32 v29, 1, v28                                  // 0000000045F8: 263A3881
	v_xor_b32_e32 v29, v30, v29                                // 0000000045FC: 2A3A3B1E
	v_mul_i32_i24_e32 v29, 8, v29                              // 000000004600: 0C3A3A88
	v_add_u32_e32 v17, v29, v17                                // 000000004604: 6822231D
	v_lshlrev_b32_e32 v17, 2, v17                              // 000000004608: 24222282
	v_lshrrev_b32_e32 v28, 5, v0                               // 00000000460C: 20380085
	v_mul_i32_i24_e32 v18, 32, v28                             // 000000004610: 0C2438A0
	v_and_b32_e32 v28, 31, v0                                  // 000000004614: 2638009F
	v_and_b32_e32 v28, 3, v28                                  // 000000004618: 26383883
	v_and_b32_e32 v29, 1, v28                                  // 00000000461C: 263A3881
	v_mul_i32_i24_e32 v29, 4, v29                              // 000000004620: 0C3A3A84
	v_add_u32_e32 v18, v29, v18                                // 000000004624: 6824251D
	v_and_b32_e32 v29, 2, v28                                  // 000000004628: 263A3882
	v_lshrrev_b32_e32 v29, 1, v29                              // 00000000462C: 203A3A81
	v_add_u32_e32 v18, v29, v18                                // 000000004630: 6824251D
	v_and_b32_e32 v28, 31, v0                                  // 000000004634: 2638009F
	v_lshrrev_b32_e32 v28, 2, v28                              // 000000004638: 20383882
	v_and_b32_e32 v30, 1, v28                                  // 00000000463C: 263C3881
	v_mul_i32_i24_e32 v29, 16, v30                             // 000000004640: 0C3A3C90
	v_add_u32_e32 v18, v29, v18                                // 000000004644: 6824251D
	v_and_b32_e32 v29, 2, v28                                  // 000000004648: 263A3882
	v_add_u32_e32 v18, v29, v18                                // 00000000464C: 6824251D
	v_lshrrev_b32_e32 v29, 2, v28                              // 000000004650: 203A3882
	v_xor_b32_e32 v29, v30, v29                                // 000000004654: 2A3A3B1E
	v_mul_i32_i24_e32 v29, 8, v29                              // 000000004658: 0C3A3A88
	v_add_u32_e32 v18, v29, v18                                // 00000000465C: 6824251D
	s_and_b32 s60, 1, s47                                      // 000000004660: 863C2F81
	s_mul_i32 s60, s60, 64                                     // 000000004664: 923CC03C
	s_lshr_b32 s61, s47, 1                                     // 000000004668: 8F3D812F
	s_mul_i32 s61, s61, 0x120                                  // 00000000466C: 923DFF3D 00000120
	s_add_u32 s60, s60, s61                                    // 000000004674: 803C3D3C
	v_add_u32_e32 v18, s60, v18                                // 000000004678: 6824243C
	v_lshlrev_b32_e32 v18, 2, v18                              // 00000000467C: 24242482
	buffer_load_dword v152, v1, s[12:15], 0 idxen              // 000000004680: E0502000 80039801
	buffer_load_dword v153, v2, s[12:15], 0 idxen              // 000000004688: E0502000 80039902
	buffer_load_dword v154, v3, s[12:15], 0 idxen              // 000000004690: E0502000 80039A03
	buffer_load_dword v155, v4, s[12:15], 0 idxen              // 000000004698: E0502000 80039B04
	s_mul_i32 s60, 16, s7                                      // 0000000046A0: 923C0790
	s_cmp_lt_i32 0, s72                                        // 0000000046A4: BF044880
	s_cselect_b32 s60, s60, 0                                  // 0000000046A8: 853C803C
	s_add_u32 s12, s60, s12                                    // 0000000046AC: 800C0C3C
	s_addc_u32 s13, 0, s13                                     // 0000000046B0: 820D0D80
	buffer_load_dword v156, v1, s[12:15], 0 idxen              // 0000000046B4: E0502000 80039C01
	buffer_load_dword v157, v2, s[12:15], 0 idxen              // 0000000046BC: E0502000 80039D02
	buffer_load_dword v158, v3, s[12:15], 0 idxen              // 0000000046C4: E0502000 80039E03
	buffer_load_dword v159, v4, s[12:15], 0 idxen              // 0000000046CC: E0502000 80039F04
	s_mul_i32 s60, 16, s7                                      // 0000000046D4: 923C0790
	s_cmp_lt_i32 0, s72                                        // 0000000046D8: BF044880
	s_cselect_b32 s60, s60, 0                                  // 0000000046DC: 853C803C
	s_add_u32 s12, s60, s12                                    // 0000000046E0: 800C0C3C
	s_addc_u32 s13, 0, s13                                     // 0000000046E4: 820D0D80
	buffer_load_dword v160, v1, s[12:15], 0 idxen              // 0000000046E8: E0502000 8003A001
	buffer_load_dword v161, v2, s[12:15], 0 idxen              // 0000000046F0: E0502000 8003A102
	buffer_load_dword v162, v3, s[12:15], 0 idxen              // 0000000046F8: E0502000 8003A203
	buffer_load_dword v163, v4, s[12:15], 0 idxen              // 000000004700: E0502000 8003A304
	s_mul_i32 s60, 16, s7                                      // 000000004708: 923C0790
	s_cmp_lt_i32 0, s72                                        // 00000000470C: BF044880
	s_cselect_b32 s60, s60, 0                                  // 000000004710: 853C803C
	s_add_u32 s12, s60, s12                                    // 000000004714: 800C0C3C
	s_addc_u32 s13, 0, s13                                     // 000000004718: 820D0D80
	buffer_load_dword v164, v1, s[12:15], 0 idxen              // 00000000471C: E0502000 8003A401
	buffer_load_dword v165, v2, s[12:15], 0 idxen              // 000000004724: E0502000 8003A502
	buffer_load_dword v166, v3, s[12:15], 0 idxen              // 00000000472C: E0502000 8003A603
	buffer_load_dword v167, v4, s[12:15], 0 idxen              // 000000004734: E0502000 8003A704
	s_mul_i32 s60, 16, s7                                      // 00000000473C: 923C0790
	s_cmp_lt_i32 1, s72                                        // 000000004740: BF044881
	s_cselect_b32 s60, s60, 0                                  // 000000004744: 853C803C
	s_add_u32 s12, s60, s12                                    // 000000004748: 800C0C3C
	s_addc_u32 s13, 0, s13                                     // 00000000474C: 820D0D80
	buffer_load_dword v168, v1, s[12:15], 0 idxen              // 000000004750: E0502000 8003A801
	buffer_load_dword v169, v2, s[12:15], 0 idxen              // 000000004758: E0502000 8003A902
	buffer_load_dword v170, v3, s[12:15], 0 idxen              // 000000004760: E0502000 8003AA03
	buffer_load_dword v171, v4, s[12:15], 0 idxen              // 000000004768: E0502000 8003AB04
	s_mul_i32 s60, 16, s7                                      // 000000004770: 923C0790
	s_cmp_lt_i32 1, s72                                        // 000000004774: BF044881
	s_cselect_b32 s60, s60, 0                                  // 000000004778: 853C803C
	s_add_u32 s12, s60, s12                                    // 00000000477C: 800C0C3C
	s_addc_u32 s13, 0, s13                                     // 000000004780: 820D0D80
	buffer_load_dword v172, v1, s[12:15], 0 idxen              // 000000004784: E0502000 8003AC01
	buffer_load_dword v173, v2, s[12:15], 0 idxen              // 00000000478C: E0502000 8003AD02
	buffer_load_dword v174, v3, s[12:15], 0 idxen              // 000000004794: E0502000 8003AE03
	buffer_load_dword v175, v4, s[12:15], 0 idxen              // 00000000479C: E0502000 8003AF04
	s_mul_i32 s60, 16, s7                                      // 0000000047A4: 923C0790
	s_cmp_lt_i32 1, s72                                        // 0000000047A8: BF044881
	s_cselect_b32 s60, s60, 0                                  // 0000000047AC: 853C803C
	s_add_u32 s12, s60, s12                                    // 0000000047B0: 800C0C3C
	s_addc_u32 s13, 0, s13                                     // 0000000047B4: 820D0D80
	buffer_load_dword v176, v1, s[12:15], 0 idxen              // 0000000047B8: E0502000 8003B001
	buffer_load_dword v177, v2, s[12:15], 0 idxen              // 0000000047C0: E0502000 8003B102
	buffer_load_dword v178, v3, s[12:15], 0 idxen              // 0000000047C8: E0502000 8003B203
	buffer_load_dword v179, v4, s[12:15], 0 idxen              // 0000000047D0: E0502000 8003B304
	s_mul_i32 s60, 16, s7                                      // 0000000047D8: 923C0790
	s_cmp_lt_i32 1, s72                                        // 0000000047DC: BF044881
	s_cselect_b32 s60, s60, 0                                  // 0000000047E0: 853C803C
	s_add_u32 s12, s60, s12                                    // 0000000047E4: 800C0C3C
	s_addc_u32 s13, 0, s13                                     // 0000000047E8: 820D0D80
	buffer_load_dword v180, v1, s[12:15], 0 idxen              // 0000000047EC: E0502000 8003B401
	buffer_load_dword v181, v2, s[12:15], 0 idxen              // 0000000047F4: E0502000 8003B502
	buffer_load_dword v182, v3, s[12:15], 0 idxen              // 0000000047FC: E0502000 8003B603
	buffer_load_dword v183, v4, s[12:15], 0 idxen              // 000000004804: E0502000 8003B704
	s_mul_i32 s60, 16, s7                                      // 00000000480C: 923C0790
	s_cmp_lt_i32 2, s72                                        // 000000004810: BF044882
	s_cselect_b32 s60, s60, 0                                  // 000000004814: 853C803C
	s_add_u32 s12, s60, s12                                    // 000000004818: 800C0C3C
	s_addc_u32 s13, 0, s13                                     // 00000000481C: 820D0D80
	buffer_load_dword v184, v1, s[12:15], 0 idxen              // 000000004820: E0502000 8003B801
	buffer_load_dword v185, v2, s[12:15], 0 idxen              // 000000004828: E0502000 8003B902
	buffer_load_dword v186, v3, s[12:15], 0 idxen              // 000000004830: E0502000 8003BA03
	buffer_load_dword v187, v4, s[12:15], 0 idxen              // 000000004838: E0502000 8003BB04
	s_mul_i32 s60, 16, s7                                      // 000000004840: 923C0790
	s_cmp_lt_i32 2, s72                                        // 000000004844: BF044882
	s_cselect_b32 s60, s60, 0                                  // 000000004848: 853C803C
	s_add_u32 s12, s60, s12                                    // 00000000484C: 800C0C3C
	s_addc_u32 s13, 0, s13                                     // 000000004850: 820D0D80
	buffer_load_dword v188, v1, s[12:15], 0 idxen              // 000000004854: E0502000 8003BC01
	buffer_load_dword v189, v2, s[12:15], 0 idxen              // 00000000485C: E0502000 8003BD02
	buffer_load_dword v190, v3, s[12:15], 0 idxen              // 000000004864: E0502000 8003BE03
	buffer_load_dword v191, v4, s[12:15], 0 idxen              // 00000000486C: E0502000 8003BF04
	s_mul_i32 s60, 16, s7                                      // 000000004874: 923C0790
	s_cmp_lt_i32 2, s72                                        // 000000004878: BF044882
	s_cselect_b32 s60, s60, 0                                  // 00000000487C: 853C803C
	s_add_u32 s12, s60, s12                                    // 000000004880: 800C0C3C
	s_addc_u32 s13, 0, s13                                     // 000000004884: 820D0D80
	buffer_load_dword v192, v1, s[12:15], 0 idxen              // 000000004888: E0502000 8003C001
	buffer_load_dword v193, v2, s[12:15], 0 idxen              // 000000004890: E0502000 8003C102
	buffer_load_dword v194, v3, s[12:15], 0 idxen              // 000000004898: E0502000 8003C203
	buffer_load_dword v195, v4, s[12:15], 0 idxen              // 0000000048A0: E0502000 8003C304
	s_mul_i32 s60, 16, s7                                      // 0000000048A8: 923C0790
	s_cmp_lt_i32 2, s72                                        // 0000000048AC: BF044882
	s_cselect_b32 s60, s60, 0                                  // 0000000048B0: 853C803C
	s_add_u32 s12, s60, s12                                    // 0000000048B4: 800C0C3C
	s_addc_u32 s13, 0, s13                                     // 0000000048B8: 820D0D80
	buffer_load_dword v196, v1, s[12:15], 0 idxen              // 0000000048BC: E0502000 8003C401
	buffer_load_dword v197, v2, s[12:15], 0 idxen              // 0000000048C4: E0502000 8003C502
	buffer_load_dword v198, v3, s[12:15], 0 idxen              // 0000000048CC: E0502000 8003C603
	buffer_load_dword v199, v4, s[12:15], 0 idxen              // 0000000048D4: E0502000 8003C704
	s_mul_i32 s60, 16, s7                                      // 0000000048DC: 923C0790
	s_cmp_lt_i32 3, s72                                        // 0000000048E0: BF044883
	s_cselect_b32 s60, s60, 0                                  // 0000000048E4: 853C803C
	s_add_u32 s12, s60, s12                                    // 0000000048E8: 800C0C3C
	s_addc_u32 s13, 0, s13                                     // 0000000048EC: 820D0D80
	s_waitcnt vmcnt(32) lgkmcnt(0)                             // 0000000048F0: BF8C8070
	s_barrier                                                  // 0000000048F4: BF8A0000
	s_cmp_lt_i32 0, s72                                        // 0000000048F8: BF044880
	s_cbranch_scc1 label_02D0                                  // 0000000048FC: BF850010
	v_mov_b32_e32 v152, 0                                      // 000000004900: 7F300280
	v_mov_b32_e32 v153, 0                                      // 000000004904: 7F320280
	v_mov_b32_e32 v154, 0                                      // 000000004908: 7F340280
	v_mov_b32_e32 v155, 0                                      // 00000000490C: 7F360280
	v_mov_b32_e32 v156, 0                                      // 000000004910: 7F380280
	v_mov_b32_e32 v157, 0                                      // 000000004914: 7F3A0280
	v_mov_b32_e32 v158, 0                                      // 000000004918: 7F3C0280
	v_mov_b32_e32 v159, 0                                      // 00000000491C: 7F3E0280
	v_mov_b32_e32 v160, 0                                      // 000000004920: 7F400280
	v_mov_b32_e32 v161, 0                                      // 000000004924: 7F420280
	v_mov_b32_e32 v162, 0                                      // 000000004928: 7F440280
	v_mov_b32_e32 v163, 0                                      // 00000000492C: 7F460280
	v_mov_b32_e32 v164, 0                                      // 000000004930: 7F480280
	v_mov_b32_e32 v165, 0                                      // 000000004934: 7F4A0280
	v_mov_b32_e32 v166, 0                                      // 000000004938: 7F4C0280
	v_mov_b32_e32 v167, 0                                      // 00000000493C: 7F4E0280

0000000000004940 <label_02D0>:
	v_perm_b32 v200, v153, v152, s63                           // 000000004940: D1ED00C8 00FF3199
	v_perm_b32 v201, v153, v152, s64                           // 000000004948: D1ED00C9 01033199
	v_perm_b32 v202, v155, v154, s63                           // 000000004950: D1ED00CA 00FF359B
	v_perm_b32 v203, v155, v154, s64                           // 000000004958: D1ED00CB 0103359B
	v_perm_b32 v204, v157, v156, s63                           // 000000004960: D1ED00CC 00FF399D
	v_perm_b32 v205, v157, v156, s64                           // 000000004968: D1ED00CD 0103399D
	v_perm_b32 v206, v159, v158, s63                           // 000000004970: D1ED00CE 00FF3D9F
	v_perm_b32 v207, v159, v158, s64                           // 000000004978: D1ED00CF 01033D9F
	v_perm_b32 v208, v161, v160, s63                           // 000000004980: D1ED00D0 00FF41A1
	v_perm_b32 v209, v161, v160, s64                           // 000000004988: D1ED00D1 010341A1
	v_perm_b32 v210, v163, v162, s63                           // 000000004990: D1ED00D2 00FF45A3
	v_perm_b32 v211, v163, v162, s64                           // 000000004998: D1ED00D3 010345A3
	v_perm_b32 v212, v165, v164, s63                           // 0000000049A0: D1ED00D4 00FF49A5
	v_perm_b32 v213, v165, v164, s64                           // 0000000049A8: D1ED00D5 010349A5
	v_perm_b32 v214, v167, v166, s63                           // 0000000049B0: D1ED00D6 00FF4DA7
	v_perm_b32 v215, v167, v166, s64                           // 0000000049B8: D1ED00D7 01034DA7
	ds_write_b32 v13, v200 offset:17408                        // 0000000049C0: D81A4400 0000C80D
	ds_write_b32 v13, v201 offset:18464                        // 0000000049C8: D81A4820 0000C90D
	ds_write_b32 v13, v202 offset:17536                        // 0000000049D0: D81A4480 0000CA0D
	ds_write_b32 v13, v203 offset:18592                        // 0000000049D8: D81A48A0 0000CB0D
	ds_write_b32 v13, v204 offset:21760                        // 0000000049E0: D81A5500 0000CC0D
	ds_write_b32 v13, v205 offset:22816                        // 0000000049E8: D81A5920 0000CD0D
	ds_write_b32 v13, v206 offset:21888                        // 0000000049F0: D81A5580 0000CE0D
	ds_write_b32 v13, v207 offset:22944                        // 0000000049F8: D81A59A0 0000CF0D
	ds_write_b32 v13, v208 offset:26112                        // 000000004A00: D81A6600 0000D00D
	ds_write_b32 v13, v209 offset:27168                        // 000000004A08: D81A6A20 0000D10D
	ds_write_b32 v13, v210 offset:26240                        // 000000004A10: D81A6680 0000D20D
	ds_write_b32 v13, v211 offset:27296                        // 000000004A18: D81A6AA0 0000D30D
	ds_write_b32 v13, v212 offset:30464                        // 000000004A20: D81A7700 0000D40D
	ds_write_b32 v13, v213 offset:31520                        // 000000004A28: D81A7B20 0000D50D
	ds_write_b32 v13, v214 offset:30592                        // 000000004A30: D81A7780 0000D60D
	ds_write_b32 v13, v215 offset:31648                        // 000000004A38: D81A7BA0 0000D70D
	ds_write_b32 v11, v152                                     // 000000004A40: D81A0000 0000980B
	ds_write_b32 v11, v153 offset:1056                         // 000000004A48: D81A0420 0000990B
	ds_write_b32 v11, v154 offset:128                          // 000000004A50: D81A0080 00009A0B
	ds_write_b32 v11, v155 offset:1184                         // 000000004A58: D81A04A0 00009B0B
	ds_write_b32 v11, v156 offset:4352                         // 000000004A60: D81A1100 00009C0B
	ds_write_b32 v11, v157 offset:5408                         // 000000004A68: D81A1520 00009D0B
	ds_write_b32 v11, v158 offset:4480                         // 000000004A70: D81A1180 00009E0B
	ds_write_b32 v11, v159 offset:5536                         // 000000004A78: D81A15A0 00009F0B
	ds_write_b32 v11, v160 offset:8704                         // 000000004A80: D81A2200 0000A00B
	ds_write_b32 v11, v161 offset:9760                         // 000000004A88: D81A2620 0000A10B
	ds_write_b32 v11, v162 offset:8832                         // 000000004A90: D81A2280 0000A20B
	ds_write_b32 v11, v163 offset:9888                         // 000000004A98: D81A26A0 0000A30B
	ds_write_b32 v11, v164 offset:13056                        // 000000004AA0: D81A3300 0000A40B
	ds_write_b32 v11, v165 offset:14112                        // 000000004AA8: D81A3720 0000A50B
	ds_write_b32 v11, v166 offset:13184                        // 000000004AB0: D81A3380 0000A60B
	ds_write_b32 v11, v167 offset:14240                        // 000000004AB8: D81A37A0 0000A70B
	buffer_load_dword v152, v1, s[16:19], 0 idxen              // 000000004AC0: E0502000 80049801
	buffer_load_dword v153, v2, s[16:19], 0 idxen              // 000000004AC8: E0502000 80049902
	buffer_load_dword v154, v3, s[16:19], 0 idxen              // 000000004AD0: E0502000 80049A03
	buffer_load_dword v155, v4, s[16:19], 0 idxen              // 000000004AD8: E0502000 80049B04
	s_mul_i32 s60, 16, s7                                      // 000000004AE0: 923C0790
	s_cmp_lt_i32 0, s72                                        // 000000004AE4: BF044880
	s_cselect_b32 s60, s60, 0                                  // 000000004AE8: 853C803C
	s_add_u32 s16, s60, s16                                    // 000000004AEC: 8010103C
	s_addc_u32 s17, 0, s17                                     // 000000004AF0: 82111180
	buffer_load_dword v156, v1, s[16:19], 0 idxen              // 000000004AF4: E0502000 80049C01
	buffer_load_dword v157, v2, s[16:19], 0 idxen              // 000000004AFC: E0502000 80049D02
	buffer_load_dword v158, v3, s[16:19], 0 idxen              // 000000004B04: E0502000 80049E03
	buffer_load_dword v159, v4, s[16:19], 0 idxen              // 000000004B0C: E0502000 80049F04
	s_mul_i32 s60, 16, s7                                      // 000000004B14: 923C0790
	s_cmp_lt_i32 0, s72                                        // 000000004B18: BF044880
	s_cselect_b32 s60, s60, 0                                  // 000000004B1C: 853C803C
	s_add_u32 s16, s60, s16                                    // 000000004B20: 8010103C
	s_addc_u32 s17, 0, s17                                     // 000000004B24: 82111180
	buffer_load_dword v160, v1, s[16:19], 0 idxen              // 000000004B28: E0502000 8004A001
	buffer_load_dword v161, v2, s[16:19], 0 idxen              // 000000004B30: E0502000 8004A102
	buffer_load_dword v162, v3, s[16:19], 0 idxen              // 000000004B38: E0502000 8004A203
	buffer_load_dword v163, v4, s[16:19], 0 idxen              // 000000004B40: E0502000 8004A304
	s_mul_i32 s60, 16, s7                                      // 000000004B48: 923C0790
	s_cmp_lt_i32 0, s72                                        // 000000004B4C: BF044880
	s_cselect_b32 s60, s60, 0                                  // 000000004B50: 853C803C
	s_add_u32 s16, s60, s16                                    // 000000004B54: 8010103C
	s_addc_u32 s17, 0, s17                                     // 000000004B58: 82111180
	buffer_load_dword v164, v1, s[16:19], 0 idxen              // 000000004B5C: E0502000 8004A401
	buffer_load_dword v165, v2, s[16:19], 0 idxen              // 000000004B64: E0502000 8004A502
	buffer_load_dword v166, v3, s[16:19], 0 idxen              // 000000004B6C: E0502000 8004A603
	buffer_load_dword v167, v4, s[16:19], 0 idxen              // 000000004B74: E0502000 8004A704
	s_mul_i32 s60, 16, s7                                      // 000000004B7C: 923C0790
	s_cmp_lt_i32 1, s72                                        // 000000004B80: BF044881
	s_cselect_b32 s60, s60, 0                                  // 000000004B84: 853C803C
	s_add_u32 s16, s60, s16                                    // 000000004B88: 8010103C
	s_addc_u32 s17, 0, s17                                     // 000000004B8C: 82111180
	s_waitcnt lgkmcnt(0)                                       // 000000004B90: BF8CC07F
	s_barrier                                                  // 000000004B94: BF8A0000
	ds_read_b128 a[48:51], v23 offset:17408                    // 000000004B98: DBFE4400 30000017
	ds_read_b128 a[52:55], v23 offset:17664                    // 000000004BA0: DBFE4500 34000017
	ds_read_b128 a[56:59], v23 offset:26112                    // 000000004BA8: DBFE6600 38000017
	ds_read_b128 a[60:63], v23 offset:26368                    // 000000004BB0: DBFE6700 3C000017
	ds_read_b128 a[0:3], v22                                   // 000000004BB8: DBFE0000 00000016
	ds_read_b128 a[4:7], v22 offset:512                        // 000000004BC0: DBFE0200 04000016
	ds_read_b128 a[8:11], v22 offset:2176                      // 000000004BC8: DBFE0880 08000016
	ds_read_b128 a[12:15], v22 offset:2688                     // 000000004BD0: DBFE0A80 0C000016
	s_waitcnt vmcnt(32) lgkmcnt(0)                             // 000000004BD8: BF8C8070
	s_barrier                                                  // 000000004BDC: BF8A0000
	s_cmp_lt_i32 1, s72                                        // 000000004BE0: BF044881
	s_cbranch_scc1 label_038A                                  // 000000004BE4: BF850010
	v_mov_b32_e32 v168, 0                                      // 000000004BE8: 7F500280
	v_mov_b32_e32 v169, 0                                      // 000000004BEC: 7F520280
	v_mov_b32_e32 v170, 0                                      // 000000004BF0: 7F540280
	v_mov_b32_e32 v171, 0                                      // 000000004BF4: 7F560280
	v_mov_b32_e32 v172, 0                                      // 000000004BF8: 7F580280
	v_mov_b32_e32 v173, 0                                      // 000000004BFC: 7F5A0280
	v_mov_b32_e32 v174, 0                                      // 000000004C00: 7F5C0280
	v_mov_b32_e32 v175, 0                                      // 000000004C04: 7F5E0280
	v_mov_b32_e32 v176, 0                                      // 000000004C08: 7F600280
	v_mov_b32_e32 v177, 0                                      // 000000004C0C: 7F620280
	v_mov_b32_e32 v178, 0                                      // 000000004C10: 7F640280
	v_mov_b32_e32 v179, 0                                      // 000000004C14: 7F660280
	v_mov_b32_e32 v180, 0                                      // 000000004C18: 7F680280
	v_mov_b32_e32 v181, 0                                      // 000000004C1C: 7F6A0280
	v_mov_b32_e32 v182, 0                                      // 000000004C20: 7F6C0280
	v_mov_b32_e32 v183, 0                                      // 000000004C24: 7F6E0280

0000000000004c28 <label_038A>:
	v_perm_b32 v200, v169, v168, s63                           // 000000004C28: D1ED00C8 00FF51A9
	v_perm_b32 v201, v169, v168, s64                           // 000000004C30: D1ED00C9 010351A9
	v_perm_b32 v202, v171, v170, s63                           // 000000004C38: D1ED00CA 00FF55AB
	v_perm_b32 v203, v171, v170, s64                           // 000000004C40: D1ED00CB 010355AB
	v_perm_b32 v204, v173, v172, s63                           // 000000004C48: D1ED00CC 00FF59AD
	v_perm_b32 v205, v173, v172, s64                           // 000000004C50: D1ED00CD 010359AD
	v_perm_b32 v206, v175, v174, s63                           // 000000004C58: D1ED00CE 00FF5DAF
	v_perm_b32 v207, v175, v174, s64                           // 000000004C60: D1ED00CF 01035DAF
	v_perm_b32 v208, v177, v176, s63                           // 000000004C68: D1ED00D0 00FF61B1
	v_perm_b32 v209, v177, v176, s64                           // 000000004C70: D1ED00D1 010361B1
	v_perm_b32 v210, v179, v178, s63                           // 000000004C78: D1ED00D2 00FF65B3
	v_perm_b32 v211, v179, v178, s64                           // 000000004C80: D1ED00D3 010365B3
	v_perm_b32 v212, v181, v180, s63                           // 000000004C88: D1ED00D4 00FF69B5
	v_perm_b32 v213, v181, v180, s64                           // 000000004C90: D1ED00D5 010369B5
	v_perm_b32 v214, v183, v182, s63                           // 000000004C98: D1ED00D6 00FF6DB7
	v_perm_b32 v215, v183, v182, s64                           // 000000004CA0: D1ED00D7 01036DB7
	ds_write_b32 v13, v200 offset:17408                        // 000000004CA8: D81A4400 0000C80D
	ds_write_b32 v13, v201 offset:18464                        // 000000004CB0: D81A4820 0000C90D
	ds_write_b32 v13, v202 offset:17536                        // 000000004CB8: D81A4480 0000CA0D
	ds_write_b32 v13, v203 offset:18592                        // 000000004CC0: D81A48A0 0000CB0D
	ds_write_b32 v13, v204 offset:21760                        // 000000004CC8: D81A5500 0000CC0D
	ds_write_b32 v13, v205 offset:22816                        // 000000004CD0: D81A5920 0000CD0D
	ds_write_b32 v13, v206 offset:21888                        // 000000004CD8: D81A5580 0000CE0D
	ds_write_b32 v13, v207 offset:22944                        // 000000004CE0: D81A59A0 0000CF0D
	ds_write_b32 v13, v208 offset:26112                        // 000000004CE8: D81A6600 0000D00D
	ds_write_b32 v13, v209 offset:27168                        // 000000004CF0: D81A6A20 0000D10D
	ds_write_b32 v13, v210 offset:26240                        // 000000004CF8: D81A6680 0000D20D
	ds_write_b32 v13, v211 offset:27296                        // 000000004D00: D81A6AA0 0000D30D
	ds_write_b32 v13, v212 offset:30464                        // 000000004D08: D81A7700 0000D40D
	ds_write_b32 v13, v213 offset:31520                        // 000000004D10: D81A7B20 0000D50D
	ds_write_b32 v13, v214 offset:30592                        // 000000004D18: D81A7780 0000D60D
	ds_write_b32 v13, v215 offset:31648                        // 000000004D20: D81A7BA0 0000D70D
	ds_write_b32 v11, v168                                     // 000000004D28: D81A0000 0000A80B
	ds_write_b32 v11, v169 offset:1056                         // 000000004D30: D81A0420 0000A90B
	ds_write_b32 v11, v170 offset:128                          // 000000004D38: D81A0080 0000AA0B
	ds_write_b32 v11, v171 offset:1184                         // 000000004D40: D81A04A0 0000AB0B
	ds_write_b32 v11, v172 offset:4352                         // 000000004D48: D81A1100 0000AC0B
	ds_write_b32 v11, v173 offset:5408                         // 000000004D50: D81A1520 0000AD0B
	ds_write_b32 v11, v174 offset:4480                         // 000000004D58: D81A1180 0000AE0B
	ds_write_b32 v11, v175 offset:5536                         // 000000004D60: D81A15A0 0000AF0B
	ds_write_b32 v11, v176 offset:8704                         // 000000004D68: D81A2200 0000B00B
	ds_write_b32 v11, v177 offset:9760                         // 000000004D70: D81A2620 0000B10B
	ds_write_b32 v11, v178 offset:8832                         // 000000004D78: D81A2280 0000B20B
	ds_write_b32 v11, v179 offset:9888                         // 000000004D80: D81A26A0 0000B30B
	ds_write_b32 v11, v180 offset:13056                        // 000000004D88: D81A3300 0000B40B
	ds_write_b32 v11, v181 offset:14112                        // 000000004D90: D81A3720 0000B50B
	ds_write_b32 v11, v182 offset:13184                        // 000000004D98: D81A3380 0000B60B
	ds_write_b32 v11, v183 offset:14240                        // 000000004DA0: D81A37A0 0000B70B
	buffer_load_dword v168, v1, s[16:19], 0 idxen              // 000000004DA8: E0502000 8004A801
	buffer_load_dword v169, v2, s[16:19], 0 idxen              // 000000004DB0: E0502000 8004A902
	buffer_load_dword v170, v3, s[16:19], 0 idxen              // 000000004DB8: E0502000 8004AA03
	buffer_load_dword v171, v4, s[16:19], 0 idxen              // 000000004DC0: E0502000 8004AB04
	s_mul_i32 s60, 16, s7                                      // 000000004DC8: 923C0790
	s_cmp_lt_i32 1, s72                                        // 000000004DCC: BF044881
	s_cselect_b32 s60, s60, 0                                  // 000000004DD0: 853C803C
	s_add_u32 s16, s60, s16                                    // 000000004DD4: 8010103C
	s_addc_u32 s17, 0, s17                                     // 000000004DD8: 82111180
	buffer_load_dword v172, v1, s[16:19], 0 idxen              // 000000004DDC: E0502000 8004AC01
	buffer_load_dword v173, v2, s[16:19], 0 idxen              // 000000004DE4: E0502000 8004AD02
	buffer_load_dword v174, v3, s[16:19], 0 idxen              // 000000004DEC: E0502000 8004AE03
	buffer_load_dword v175, v4, s[16:19], 0 idxen              // 000000004DF4: E0502000 8004AF04
	s_mul_i32 s60, 16, s7                                      // 000000004DFC: 923C0790
	s_cmp_lt_i32 1, s72                                        // 000000004E00: BF044881
	s_cselect_b32 s60, s60, 0                                  // 000000004E04: 853C803C
	s_add_u32 s16, s60, s16                                    // 000000004E08: 8010103C
	s_addc_u32 s17, 0, s17                                     // 000000004E0C: 82111180
	buffer_load_dword v176, v1, s[16:19], 0 idxen              // 000000004E10: E0502000 8004B001
	buffer_load_dword v177, v2, s[16:19], 0 idxen              // 000000004E18: E0502000 8004B102
	buffer_load_dword v178, v3, s[16:19], 0 idxen              // 000000004E20: E0502000 8004B203
	buffer_load_dword v179, v4, s[16:19], 0 idxen              // 000000004E28: E0502000 8004B304
	s_mul_i32 s60, 16, s7                                      // 000000004E30: 923C0790
	s_cmp_lt_i32 1, s72                                        // 000000004E34: BF044881
	s_cselect_b32 s60, s60, 0                                  // 000000004E38: 853C803C
	s_add_u32 s16, s60, s16                                    // 000000004E3C: 8010103C
	s_addc_u32 s17, 0, s17                                     // 000000004E40: 82111180
	buffer_load_dword v180, v1, s[16:19], 0 idxen              // 000000004E44: E0502000 8004B401
	buffer_load_dword v181, v2, s[16:19], 0 idxen              // 000000004E4C: E0502000 8004B502
	buffer_load_dword v182, v3, s[16:19], 0 idxen              // 000000004E54: E0502000 8004B603
	buffer_load_dword v183, v4, s[16:19], 0 idxen              // 000000004E5C: E0502000 8004B704
	s_mul_i32 s60, 16, s7                                      // 000000004E64: 923C0790
	s_cmp_lt_i32 2, s72                                        // 000000004E68: BF044882
	s_cselect_b32 s60, s60, 0                                  // 000000004E6C: 853C803C
	s_add_u32 s16, s60, s16                                    // 000000004E70: 8010103C
	s_addc_u32 s17, 0, s17                                     // 000000004E74: 82111180
	s_waitcnt lgkmcnt(0)                                       // 000000004E78: BF8CC07F
	s_barrier                                                  // 000000004E7C: BF8A0000
	ds_read_b128 a[64:67], v23 offset:17408                    // 000000004E80: DBFE4400 40000017
	ds_read_b128 a[68:71], v23 offset:17664                    // 000000004E88: DBFE4500 44000017
	ds_read_b128 a[72:75], v23 offset:26112                    // 000000004E90: DBFE6600 48000017
	ds_read_b128 a[76:79], v23 offset:26368                    // 000000004E98: DBFE6700 4C000017
	ds_read_b128 a[16:19], v22                                 // 000000004EA0: DBFE0000 10000016
	ds_read_b128 a[20:23], v22 offset:512                      // 000000004EA8: DBFE0200 14000016
	ds_read_b128 a[24:27], v22 offset:2176                     // 000000004EB0: DBFE0880 18000016
	ds_read_b128 a[28:31], v22 offset:2688                     // 000000004EB8: DBFE0A80 1C000016
	s_waitcnt vmcnt(32) lgkmcnt(0)                             // 000000004EC0: BF8C8070
	s_barrier                                                  // 000000004EC4: BF8A0000
	s_cmp_lt_i32 2, s72                                        // 000000004EC8: BF044882
	s_cbranch_scc1 label_0444                                  // 000000004ECC: BF850010
	v_mov_b32_e32 v184, 0                                      // 000000004ED0: 7F700280
	v_mov_b32_e32 v185, 0                                      // 000000004ED4: 7F720280
	v_mov_b32_e32 v186, 0                                      // 000000004ED8: 7F740280
	v_mov_b32_e32 v187, 0                                      // 000000004EDC: 7F760280
	v_mov_b32_e32 v188, 0                                      // 000000004EE0: 7F780280
	v_mov_b32_e32 v189, 0                                      // 000000004EE4: 7F7A0280
	v_mov_b32_e32 v190, 0                                      // 000000004EE8: 7F7C0280
	v_mov_b32_e32 v191, 0                                      // 000000004EEC: 7F7E0280
	v_mov_b32_e32 v192, 0                                      // 000000004EF0: 7F800280
	v_mov_b32_e32 v193, 0                                      // 000000004EF4: 7F820280
	v_mov_b32_e32 v194, 0                                      // 000000004EF8: 7F840280
	v_mov_b32_e32 v195, 0                                      // 000000004EFC: 7F860280
	v_mov_b32_e32 v196, 0                                      // 000000004F00: 7F880280
	v_mov_b32_e32 v197, 0                                      // 000000004F04: 7F8A0280
	v_mov_b32_e32 v198, 0                                      // 000000004F08: 7F8C0280
	v_mov_b32_e32 v199, 0                                      // 000000004F0C: 7F8E0280

0000000000004f10 <label_0444>:
	v_perm_b32 v200, v185, v184, s63                           // 000000004F10: D1ED00C8 00FF71B9
	v_perm_b32 v201, v185, v184, s64                           // 000000004F18: D1ED00C9 010371B9
	v_perm_b32 v202, v187, v186, s63                           // 000000004F20: D1ED00CA 00FF75BB
	v_perm_b32 v203, v187, v186, s64                           // 000000004F28: D1ED00CB 010375BB
	v_perm_b32 v204, v189, v188, s63                           // 000000004F30: D1ED00CC 00FF79BD
	v_perm_b32 v205, v189, v188, s64                           // 000000004F38: D1ED00CD 010379BD
	v_perm_b32 v206, v191, v190, s63                           // 000000004F40: D1ED00CE 00FF7DBF
	v_perm_b32 v207, v191, v190, s64                           // 000000004F48: D1ED00CF 01037DBF
	v_perm_b32 v208, v193, v192, s63                           // 000000004F50: D1ED00D0 00FF81C1
	v_perm_b32 v209, v193, v192, s64                           // 000000004F58: D1ED00D1 010381C1
	v_perm_b32 v210, v195, v194, s63                           // 000000004F60: D1ED00D2 00FF85C3
	v_perm_b32 v211, v195, v194, s64                           // 000000004F68: D1ED00D3 010385C3
	v_perm_b32 v212, v197, v196, s63                           // 000000004F70: D1ED00D4 00FF89C5
	v_perm_b32 v213, v197, v196, s64                           // 000000004F78: D1ED00D5 010389C5
	v_perm_b32 v214, v199, v198, s63                           // 000000004F80: D1ED00D6 00FF8DC7
	v_perm_b32 v215, v199, v198, s64                           // 000000004F88: D1ED00D7 01038DC7
	ds_write_b32 v13, v200 offset:17408                        // 000000004F90: D81A4400 0000C80D
	ds_write_b32 v13, v201 offset:18464                        // 000000004F98: D81A4820 0000C90D
	ds_write_b32 v13, v202 offset:17536                        // 000000004FA0: D81A4480 0000CA0D
	ds_write_b32 v13, v203 offset:18592                        // 000000004FA8: D81A48A0 0000CB0D
	ds_write_b32 v13, v204 offset:21760                        // 000000004FB0: D81A5500 0000CC0D
	ds_write_b32 v13, v205 offset:22816                        // 000000004FB8: D81A5920 0000CD0D
	ds_write_b32 v13, v206 offset:21888                        // 000000004FC0: D81A5580 0000CE0D
	ds_write_b32 v13, v207 offset:22944                        // 000000004FC8: D81A59A0 0000CF0D
	ds_write_b32 v13, v208 offset:26112                        // 000000004FD0: D81A6600 0000D00D
	ds_write_b32 v13, v209 offset:27168                        // 000000004FD8: D81A6A20 0000D10D
	ds_write_b32 v13, v210 offset:26240                        // 000000004FE0: D81A6680 0000D20D
	ds_write_b32 v13, v211 offset:27296                        // 000000004FE8: D81A6AA0 0000D30D
	ds_write_b32 v13, v212 offset:30464                        // 000000004FF0: D81A7700 0000D40D
	ds_write_b32 v13, v213 offset:31520                        // 000000004FF8: D81A7B20 0000D50D
	ds_write_b32 v13, v214 offset:30592                        // 000000005000: D81A7780 0000D60D
	ds_write_b32 v13, v215 offset:31648                        // 000000005008: D81A7BA0 0000D70D
	ds_write_b32 v11, v184                                     // 000000005010: D81A0000 0000B80B
	ds_write_b32 v11, v185 offset:1056                         // 000000005018: D81A0420 0000B90B
	ds_write_b32 v11, v186 offset:128                          // 000000005020: D81A0080 0000BA0B
	ds_write_b32 v11, v187 offset:1184                         // 000000005028: D81A04A0 0000BB0B
	ds_write_b32 v11, v188 offset:4352                         // 000000005030: D81A1100 0000BC0B
	ds_write_b32 v11, v189 offset:5408                         // 000000005038: D81A1520 0000BD0B
	ds_write_b32 v11, v190 offset:4480                         // 000000005040: D81A1180 0000BE0B
	ds_write_b32 v11, v191 offset:5536                         // 000000005048: D81A15A0 0000BF0B
	ds_write_b32 v11, v192 offset:8704                         // 000000005050: D81A2200 0000C00B
	ds_write_b32 v11, v193 offset:9760                         // 000000005058: D81A2620 0000C10B
	ds_write_b32 v11, v194 offset:8832                         // 000000005060: D81A2280 0000C20B
	ds_write_b32 v11, v195 offset:9888                         // 000000005068: D81A26A0 0000C30B
	ds_write_b32 v11, v196 offset:13056                        // 000000005070: D81A3300 0000C40B
	ds_write_b32 v11, v197 offset:14112                        // 000000005078: D81A3720 0000C50B
	ds_write_b32 v11, v198 offset:13184                        // 000000005080: D81A3380 0000C60B
	ds_write_b32 v11, v199 offset:14240                        // 000000005088: D81A37A0 0000C70B
	buffer_load_dword v184, v1, s[16:19], 0 idxen              // 000000005090: E0502000 8004B801
	buffer_load_dword v185, v2, s[16:19], 0 idxen              // 000000005098: E0502000 8004B902
	buffer_load_dword v186, v3, s[16:19], 0 idxen              // 0000000050A0: E0502000 8004BA03
	buffer_load_dword v187, v4, s[16:19], 0 idxen              // 0000000050A8: E0502000 8004BB04
	s_mul_i32 s60, 16, s7                                      // 0000000050B0: 923C0790
	s_cmp_lt_i32 2, s72                                        // 0000000050B4: BF044882
	s_cselect_b32 s60, s60, 0                                  // 0000000050B8: 853C803C
	s_add_u32 s16, s60, s16                                    // 0000000050BC: 8010103C
	s_addc_u32 s17, 0, s17                                     // 0000000050C0: 82111180
	buffer_load_dword v188, v1, s[16:19], 0 idxen              // 0000000050C4: E0502000 8004BC01
	buffer_load_dword v189, v2, s[16:19], 0 idxen              // 0000000050CC: E0502000 8004BD02
	buffer_load_dword v190, v3, s[16:19], 0 idxen              // 0000000050D4: E0502000 8004BE03
	buffer_load_dword v191, v4, s[16:19], 0 idxen              // 0000000050DC: E0502000 8004BF04
	s_mul_i32 s60, 16, s7                                      // 0000000050E4: 923C0790
	s_cmp_lt_i32 2, s72                                        // 0000000050E8: BF044882
	s_cselect_b32 s60, s60, 0                                  // 0000000050EC: 853C803C
	s_add_u32 s16, s60, s16                                    // 0000000050F0: 8010103C
	s_addc_u32 s17, 0, s17                                     // 0000000050F4: 82111180
	buffer_load_dword v192, v1, s[16:19], 0 idxen              // 0000000050F8: E0502000 8004C001
	buffer_load_dword v193, v2, s[16:19], 0 idxen              // 000000005100: E0502000 8004C102
	buffer_load_dword v194, v3, s[16:19], 0 idxen              // 000000005108: E0502000 8004C203
	buffer_load_dword v195, v4, s[16:19], 0 idxen              // 000000005110: E0502000 8004C304
	s_mul_i32 s60, 16, s7                                      // 000000005118: 923C0790
	s_cmp_lt_i32 2, s72                                        // 00000000511C: BF044882
	s_cselect_b32 s60, s60, 0                                  // 000000005120: 853C803C
	s_add_u32 s16, s60, s16                                    // 000000005124: 8010103C
	s_addc_u32 s17, 0, s17                                     // 000000005128: 82111180
	buffer_load_dword v196, v1, s[16:19], 0 idxen              // 00000000512C: E0502000 8004C401
	buffer_load_dword v197, v2, s[16:19], 0 idxen              // 000000005134: E0502000 8004C502
	buffer_load_dword v198, v3, s[16:19], 0 idxen              // 00000000513C: E0502000 8004C603
	buffer_load_dword v199, v4, s[16:19], 0 idxen              // 000000005144: E0502000 8004C704
	s_mul_i32 s60, 16, s7                                      // 00000000514C: 923C0790
	s_cmp_lt_i32 3, s72                                        // 000000005150: BF044883
	s_cselect_b32 s60, s60, 0                                  // 000000005154: 853C803C
	s_add_u32 s16, s60, s16                                    // 000000005158: 8010103C
	s_addc_u32 s17, 0, s17                                     // 00000000515C: 82111180
	s_waitcnt lgkmcnt(0)                                       // 000000005160: BF8CC07F
	s_barrier                                                  // 000000005164: BF8A0000
	ds_read_b128 a[80:83], v23 offset:17408                    // 000000005168: DBFE4400 50000017
	ds_read_b128 a[84:87], v23 offset:17664                    // 000000005170: DBFE4500 54000017
	ds_read_b128 a[88:91], v23 offset:26112                    // 000000005178: DBFE6600 58000017
	ds_read_b128 a[92:95], v23 offset:26368                    // 000000005180: DBFE6700 5C000017
	ds_read_b128 a[32:35], v22                                 // 000000005188: DBFE0000 20000016
	ds_read_b128 a[36:39], v22 offset:512                      // 000000005190: DBFE0200 24000016
	ds_read_b128 a[40:43], v22 offset:2176                     // 000000005198: DBFE0880 28000016
	ds_read_b128 a[44:47], v22 offset:2688                     // 0000000051A0: DBFE0A80 2C000016
	s_waitcnt vmcnt(32) lgkmcnt(0)                             // 0000000051A8: BF8C8070
	s_barrier                                                  // 0000000051AC: BF8A0000
	s_cmp_lt_i32 0, s72                                        // 0000000051B0: BF044880
	s_cbranch_scc1 label_04FE                                  // 0000000051B4: BF850010
	v_mov_b32_e32 v152, 0                                      // 0000000051B8: 7F300280
	v_mov_b32_e32 v153, 0                                      // 0000000051BC: 7F320280
	v_mov_b32_e32 v154, 0                                      // 0000000051C0: 7F340280
	v_mov_b32_e32 v155, 0                                      // 0000000051C4: 7F360280
	v_mov_b32_e32 v156, 0                                      // 0000000051C8: 7F380280
	v_mov_b32_e32 v157, 0                                      // 0000000051CC: 7F3A0280
	v_mov_b32_e32 v158, 0                                      // 0000000051D0: 7F3C0280
	v_mov_b32_e32 v159, 0                                      // 0000000051D4: 7F3E0280
	v_mov_b32_e32 v160, 0                                      // 0000000051D8: 7F400280
	v_mov_b32_e32 v161, 0                                      // 0000000051DC: 7F420280
	v_mov_b32_e32 v162, 0                                      // 0000000051E0: 7F440280
	v_mov_b32_e32 v163, 0                                      // 0000000051E4: 7F460280
	v_mov_b32_e32 v164, 0                                      // 0000000051E8: 7F480280
	v_mov_b32_e32 v165, 0                                      // 0000000051EC: 7F4A0280
	v_mov_b32_e32 v166, 0                                      // 0000000051F0: 7F4C0280
	v_mov_b32_e32 v167, 0                                      // 0000000051F4: 7F4E0280

00000000000051f8 <label_04FE>:
	ds_write_b32 v11, v152                                     // 0000000051F8: D81A0000 0000980B
	ds_write_b32 v11, v153 offset:1056                         // 000000005200: D81A0420 0000990B
	ds_write_b32 v11, v154 offset:128                          // 000000005208: D81A0080 00009A0B
	ds_write_b32 v11, v155 offset:1184                         // 000000005210: D81A04A0 00009B0B
	ds_write_b32 v11, v156 offset:4352                         // 000000005218: D81A1100 00009C0B
	ds_write_b32 v11, v157 offset:5408                         // 000000005220: D81A1520 00009D0B
	ds_write_b32 v11, v158 offset:4480                         // 000000005228: D81A1180 00009E0B
	ds_write_b32 v11, v159 offset:5536                         // 000000005230: D81A15A0 00009F0B
	ds_write_b32 v11, v160 offset:8704                         // 000000005238: D81A2200 0000A00B
	ds_write_b32 v11, v161 offset:9760                         // 000000005240: D81A2620 0000A10B
	ds_write_b32 v11, v162 offset:8832                         // 000000005248: D81A2280 0000A20B
	ds_write_b32 v11, v163 offset:9888                         // 000000005250: D81A26A0 0000A30B
	ds_write_b32 v11, v164 offset:13056                        // 000000005258: D81A3300 0000A40B
	ds_write_b32 v11, v165 offset:14112                        // 000000005260: D81A3720 0000A50B
	ds_write_b32 v11, v166 offset:13184                        // 000000005268: D81A3380 0000A60B
	ds_write_b32 v11, v167 offset:14240                        // 000000005270: D81A37A0 0000A70B
	s_mov_b32 s71, s70                                         // 000000005278: BEC70046
	v_lshrrev_b32_e32 v28, 4, v0                               // 00000000527C: 20380084
	v_and_b32_e32 v29, 1, v28                                  // 000000005280: 263A3881
	v_lshlrev_b32_e32 v29, 1, v29                              // 000000005284: 243A3A81
	v_mul_i32_i24_e32 v29, s71, v29                            // 000000005288: 0C3A3A47
	v_and_b32_e32 v30, 2, v28                                  // 00000000528C: 263C3882
	v_lshlrev_b32_e32 v30, 5, v30                              // 000000005290: 243C3C85
	v_add_u32_e32 v29, v30, v29                                // 000000005294: 683A3B1E
	v_and_b32_e32 v28, 15, v0                                  // 000000005298: 2638008F
	v_lshlrev_b32_e32 v28, 2, v28                              // 00000000529C: 24383882
	v_add_u32_e32 v1, v28, v29                                 // 0000000052A0: 68023B1C
	s_and_b32 s60, 1, s47                                      // 0000000052A4: 863C2F81
	s_mul_i32 s60, s60, s71                                    // 0000000052A8: 923C473C
	s_mul_i32 s60, s60, 8                                      // 0000000052AC: 923C883C
	s_lshr_b32 s61, s47, 1                                     // 0000000052B0: 8F3D812F
	s_mul_i32 s61, s61, 0x80                                   // 0000000052B4: 923DFF3D 00000080
	s_add_u32 s60, s60, s61                                    // 0000000052BC: 803C3D3C
	v_add_u32_e32 v1, s60, v1                                  // 0000000052C0: 6802023C
	v_add_u32_e32 v2, s71, v1                                  // 0000000052C4: 68040247
	s_mul_i32 s60, 4, s71                                      // 0000000052C8: 923C4784
	v_add_u32_e32 v3, s60, v1                                  // 0000000052CC: 6806023C
	v_add_u32_e32 v4, s60, v2                                  // 0000000052D0: 6808043C
	v_lshrrev_b32_e32 v1, 2, v1                                // 0000000052D4: 20020282
	v_lshrrev_b32_e32 v2, 2, v2                                // 0000000052D8: 20040482
	v_lshrrev_b32_e32 v3, 2, v3                                // 0000000052DC: 20060682
	v_lshrrev_b32_e32 v4, 2, v4                                // 0000000052E0: 20080882
	buffer_load_dword v32, v1, s[8:11], 0 idxen                // 0000000052E4: E0502000 80022001
	buffer_load_dword v33, v2, s[8:11], 0 idxen                // 0000000052EC: E0502000 80022102
	buffer_load_dword v34, v3, s[8:11], 0 idxen                // 0000000052F4: E0502000 80022203
	buffer_load_dword v35, v4, s[8:11], 0 idxen                // 0000000052FC: E0502000 80022304
	buffer_load_dword v40, v1, s[20:23], 0 idxen               // 000000005304: E0502000 80052801
	buffer_load_dword v41, v2, s[20:23], 0 idxen               // 00000000530C: E0502000 80052902
	buffer_load_dword v42, v3, s[20:23], 0 idxen               // 000000005314: E0502000 80052A03
	buffer_load_dword v43, v4, s[20:23], 0 idxen               // 00000000531C: E0502000 80052B04
	s_waitcnt lgkmcnt(0)                                       // 000000005324: BF8CC07F
	s_barrier                                                  // 000000005328: BF8A0000
	ds_read_b128 a[96:99], v22                                 // 00000000532C: DBFE0000 60000016
	ds_read_b128 a[100:103], v22 offset:512                    // 000000005334: DBFE0200 64000016
	ds_read_b128 a[104:107], v22 offset:2176                   // 00000000533C: DBFE0880 68000016
	ds_read_b128 a[108:111], v22 offset:2688                   // 000000005344: DBFE0A80 6C000016
	s_add_u32 s8, s68, s8                                      // 00000000534C: 80080844
	s_addc_u32 s9, 0, s9                                       // 000000005350: 82090980
	s_add_u32 s20, s68, s20                                    // 000000005354: 80141444
	s_addc_u32 s21, 0, s21                                     // 000000005358: 82151580
	s_waitcnt vmcnt(24) lgkmcnt(0)                             // 00000000535C: BF8C4078
	s_barrier                                                  // 000000005360: BF8A0000
	s_cmp_lt_i32 1, s72                                        // 000000005364: BF044881
	s_cbranch_scc1 label_056B                                  // 000000005368: BF850010
	v_mov_b32_e32 v168, 0                                      // 00000000536C: 7F500280
	v_mov_b32_e32 v169, 0                                      // 000000005370: 7F520280
	v_mov_b32_e32 v170, 0                                      // 000000005374: 7F540280
	v_mov_b32_e32 v171, 0                                      // 000000005378: 7F560280
	v_mov_b32_e32 v172, 0                                      // 00000000537C: 7F580280
	v_mov_b32_e32 v173, 0                                      // 000000005380: 7F5A0280
	v_mov_b32_e32 v174, 0                                      // 000000005384: 7F5C0280
	v_mov_b32_e32 v175, 0                                      // 000000005388: 7F5E0280
	v_mov_b32_e32 v176, 0                                      // 00000000538C: 7F600280
	v_mov_b32_e32 v177, 0                                      // 000000005390: 7F620280
	v_mov_b32_e32 v178, 0                                      // 000000005394: 7F640280
	v_mov_b32_e32 v179, 0                                      // 000000005398: 7F660280
	v_mov_b32_e32 v180, 0                                      // 00000000539C: 7F680280
	v_mov_b32_e32 v181, 0                                      // 0000000053A0: 7F6A0280
	v_mov_b32_e32 v182, 0                                      // 0000000053A4: 7F6C0280
	v_mov_b32_e32 v183, 0                                      // 0000000053A8: 7F6E0280

00000000000053ac <label_056B>:
	ds_write_b32 v11, v168                                     // 0000000053AC: D81A0000 0000A80B
	ds_write_b32 v11, v169 offset:1056                         // 0000000053B4: D81A0420 0000A90B
	ds_write_b32 v11, v170 offset:128                          // 0000000053BC: D81A0080 0000AA0B
	ds_write_b32 v11, v171 offset:1184                         // 0000000053C4: D81A04A0 0000AB0B
	ds_write_b32 v11, v172 offset:4352                         // 0000000053CC: D81A1100 0000AC0B
	ds_write_b32 v11, v173 offset:5408                         // 0000000053D4: D81A1520 0000AD0B
	ds_write_b32 v11, v174 offset:4480                         // 0000000053DC: D81A1180 0000AE0B
	ds_write_b32 v11, v175 offset:5536                         // 0000000053E4: D81A15A0 0000AF0B
	ds_write_b32 v11, v176 offset:8704                         // 0000000053EC: D81A2200 0000B00B
	ds_write_b32 v11, v177 offset:9760                         // 0000000053F4: D81A2620 0000B10B
	ds_write_b32 v11, v178 offset:8832                         // 0000000053FC: D81A2280 0000B20B
	ds_write_b32 v11, v179 offset:9888                         // 000000005404: D81A26A0 0000B30B
	ds_write_b32 v11, v180 offset:13056                        // 00000000540C: D81A3300 0000B40B
	ds_write_b32 v11, v181 offset:14112                        // 000000005414: D81A3720 0000B50B
	ds_write_b32 v11, v182 offset:13184                        // 00000000541C: D81A3380 0000B60B
	ds_write_b32 v11, v183 offset:14240                        // 000000005424: D81A37A0 0000B70B
	buffer_load_dword v36, v1, s[8:11], 0 idxen                // 00000000542C: E0502000 80022401
	buffer_load_dword v37, v2, s[8:11], 0 idxen                // 000000005434: E0502000 80022502
	buffer_load_dword v38, v3, s[8:11], 0 idxen                // 00000000543C: E0502000 80022603
	buffer_load_dword v39, v4, s[8:11], 0 idxen                // 000000005444: E0502000 80022704
	buffer_load_dword v44, v1, s[20:23], 0 idxen               // 00000000544C: E0502000 80052C01
	buffer_load_dword v45, v2, s[20:23], 0 idxen               // 000000005454: E0502000 80052D02
	buffer_load_dword v46, v3, s[20:23], 0 idxen               // 00000000545C: E0502000 80052E03
	buffer_load_dword v47, v4, s[20:23], 0 idxen               // 000000005464: E0502000 80052F04
	s_waitcnt lgkmcnt(0)                                       // 00000000546C: BF8CC07F
	s_barrier                                                  // 000000005470: BF8A0000
	ds_read_b128 a[112:115], v22                               // 000000005474: DBFE0000 70000016
	ds_read_b128 a[116:119], v22 offset:512                    // 00000000547C: DBFE0200 74000016
	ds_read_b128 a[120:123], v22 offset:2176                   // 000000005484: DBFE0880 78000016
	ds_read_b128 a[124:127], v22 offset:2688                   // 00000000548C: DBFE0A80 7C000016
	s_add_u32 s8, s68, s8                                      // 000000005494: 80080844
	s_addc_u32 s9, 0, s9                                       // 000000005498: 82090980
	s_add_u32 s20, s68, s20                                    // 00000000549C: 80141444
	s_addc_u32 s21, 0, s21                                     // 0000000054A0: 82151580
	s_waitcnt vmcnt(16) lgkmcnt(0)                             // 0000000054A4: BF8C4070
	s_barrier                                                  // 0000000054A8: BF8A0000
	s_cmp_lt_i32 2, s72                                        // 0000000054AC: BF044882
	s_cbranch_scc1 label_05BD                                  // 0000000054B0: BF850010
	v_mov_b32_e32 v184, 0                                      // 0000000054B4: 7F700280
	v_mov_b32_e32 v185, 0                                      // 0000000054B8: 7F720280
	v_mov_b32_e32 v186, 0                                      // 0000000054BC: 7F740280
	v_mov_b32_e32 v187, 0                                      // 0000000054C0: 7F760280
	v_mov_b32_e32 v188, 0                                      // 0000000054C4: 7F780280
	v_mov_b32_e32 v189, 0                                      // 0000000054C8: 7F7A0280
	v_mov_b32_e32 v190, 0                                      // 0000000054CC: 7F7C0280
	v_mov_b32_e32 v191, 0                                      // 0000000054D0: 7F7E0280
	v_mov_b32_e32 v192, 0                                      // 0000000054D4: 7F800280
	v_mov_b32_e32 v193, 0                                      // 0000000054D8: 7F820280
	v_mov_b32_e32 v194, 0                                      // 0000000054DC: 7F840280
	v_mov_b32_e32 v195, 0                                      // 0000000054E0: 7F860280
	v_mov_b32_e32 v196, 0                                      // 0000000054E4: 7F880280
	v_mov_b32_e32 v197, 0                                      // 0000000054E8: 7F8A0280
	v_mov_b32_e32 v198, 0                                      // 0000000054EC: 7F8C0280
	v_mov_b32_e32 v199, 0                                      // 0000000054F0: 7F8E0280

00000000000054f4 <label_05BD>:
	ds_write_b32 v11, v184                                     // 0000000054F4: D81A0000 0000B80B
	ds_write_b32 v11, v185 offset:1056                         // 0000000054FC: D81A0420 0000B90B
	ds_write_b32 v11, v186 offset:128                          // 000000005504: D81A0080 0000BA0B
	ds_write_b32 v11, v187 offset:1184                         // 00000000550C: D81A04A0 0000BB0B
	ds_write_b32 v11, v188 offset:4352                         // 000000005514: D81A1100 0000BC0B
	ds_write_b32 v11, v189 offset:5408                         // 00000000551C: D81A1520 0000BD0B
	ds_write_b32 v11, v190 offset:4480                         // 000000005524: D81A1180 0000BE0B
	ds_write_b32 v11, v191 offset:5536                         // 00000000552C: D81A15A0 0000BF0B
	ds_write_b32 v11, v192 offset:8704                         // 000000005534: D81A2200 0000C00B
	ds_write_b32 v11, v193 offset:9760                         // 00000000553C: D81A2620 0000C10B
	ds_write_b32 v11, v194 offset:8832                         // 000000005544: D81A2280 0000C20B
	ds_write_b32 v11, v195 offset:9888                         // 00000000554C: D81A26A0 0000C30B
	ds_write_b32 v11, v196 offset:13056                        // 000000005554: D81A3300 0000C40B
	ds_write_b32 v11, v197 offset:14112                        // 00000000555C: D81A3720 0000C50B
	ds_write_b32 v11, v198 offset:13184                        // 000000005564: D81A3380 0000C60B
	ds_write_b32 v11, v199 offset:14240                        // 00000000556C: D81A37A0 0000C70B
	s_waitcnt lgkmcnt(0)                                       // 000000005574: BF8CC07F
	s_barrier                                                  // 000000005578: BF8A0000
	ds_read_b128 a[128:131], v22                               // 00000000557C: DBFE0000 80000016
	ds_read_b128 a[132:135], v22 offset:512                    // 000000005584: DBFE0200 84000016
	ds_read_b128 a[136:139], v22 offset:2176                   // 00000000558C: DBFE0880 88000016
	ds_read_b128 a[140:143], v22 offset:2688                   // 000000005594: DBFE0A80 8C000016
	s_waitcnt vmcnt(8) lgkmcnt(0)                              // 00000000559C: BF8C0078
	s_barrier                                                  // 0000000055A0: BF8A0000
	buffer_load_dword v9, s[24:27], 0 idxen lds                // 0000000055A4: E0512000 80060009
	s_mov_b32 m0, s79                                          // 0000000055AC: BEFC004F
	v_add_u32_e32 v9, s69, v9                                  // 0000000055B0: 68121245
	v_perm_b32 v84, v33, v32, s63                              // 0000000055B4: D1ED0054 00FE4121
	v_perm_b32 v85, v33, v32, s64                              // 0000000055BC: D1ED0055 01024121
	v_perm_b32 v86, v35, v34, s63                              // 0000000055C4: D1ED0056 00FE4523
	v_perm_b32 v87, v35, v34, s64                              // 0000000055CC: D1ED0057 01024523
	ds_write_b32 v13, v84 offset:4352                          // 0000000055D4: D81A1100 0000540D
	ds_write_b32 v13, v85 offset:5408                          // 0000000055DC: D81A1520 0000550D
	ds_write_b32 v13, v86 offset:4480                          // 0000000055E4: D81A1180 0000560D
	ds_write_b32 v13, v87 offset:5536                          // 0000000055EC: D81A15A0 0000570D
	ds_write_b32 v11, v32                                      // 0000000055F4: D81A0000 0000200B
	ds_write_b32 v11, v33 offset:1056                          // 0000000055FC: D81A0420 0000210B
	ds_write_b32 v11, v34 offset:128                           // 000000005604: D81A0080 0000220B
	ds_write_b32 v11, v35 offset:1184                          // 00000000560C: D81A04A0 0000230B
	buffer_load_dword v9, s[24:27], 0 idxen lds                // 000000005614: E0512000 80060009
	s_mov_b32 m0, s78                                          // 00000000561C: BEFC004E
	v_add_u32_e32 v9, s69, v9                                  // 000000005620: 68121245
	v_perm_b32 v88, v41, v40, s63                              // 000000005624: D1ED0058 00FE5129
	v_perm_b32 v89, v41, v40, s64                              // 00000000562C: D1ED0059 01025129
	v_perm_b32 v90, v43, v42, s63                              // 000000005634: D1ED005A 00FE552B
	v_perm_b32 v91, v43, v42, s64                              // 00000000563C: D1ED005B 0102552B
	ds_write_b32 v13, v88 offset:13056                         // 000000005644: D81A3300 0000580D
	ds_write_b32 v13, v89 offset:14112                         // 00000000564C: D81A3720 0000590D
	ds_write_b32 v13, v90 offset:13184                         // 000000005654: D81A3380 00005A0D
	ds_write_b32 v13, v91 offset:14240                         // 00000000565C: D81A37A0 00005B0D
	ds_write_b32 v11, v40 offset:8704                          // 000000005664: D81A2200 0000280B
	ds_write_b32 v11, v41 offset:9760                          // 00000000566C: D81A2620 0000290B
	ds_write_b32 v11, v42 offset:8832                          // 000000005674: D81A2280 00002A0B
	ds_write_b32 v11, v43 offset:9888                          // 00000000567C: D81A26A0 00002B0B
	s_waitcnt vmcnt(1) lgkmcnt(0)                              // 000000005684: BF8C0071
	s_barrier                                                  // 000000005688: BF8A0000
	ds_read_b128 a[144:147], v10                               // 00000000568C: DBFE0000 9000000A
	ds_read_b128 a[148:151], v10 offset:512                    // 000000005694: DBFE0200 9400000A
	ds_read_b128 a[152:155], v10 offset:2176                   // 00000000569C: DBFE0880 9800000A
	ds_read_b128 a[156:159], v10 offset:2688                   // 0000000056A4: DBFE0A80 9C00000A
	ds_read_b128 v[92:95], v10 offset:8704                     // 0000000056AC: D9FE2200 5C00000A
	ds_read_b128 v[96:99], v10 offset:9216                     // 0000000056B4: D9FE2400 6000000A
	ds_read_b128 v[100:103], v10 offset:10880                  // 0000000056BC: D9FE2A80 6400000A
	ds_read_b128 v[104:107], v10 offset:11392                  // 0000000056C4: D9FE2C80 6800000A
	ds_read_b32 v124, v21 offset:50688                         // 0000000056CC: D86CC600 7C000015
	ds_read_b32 v150, v21 offset:50944                         // 0000000056D4: D86CC700 96000015
	v_accvgpr_write_b32 a160, 0                                // 0000000056DC: D3D940A0 18000080
	v_mov_b32_e32 v152, 0                                      // 0000000056E4: 7F300280
	v_accvgpr_write_b32 a161, 0                                // 0000000056E8: D3D940A1 18000080
	v_mov_b32_e32 v153, 0                                      // 0000000056F0: 7F320280
	v_accvgpr_write_b32 a162, 0                                // 0000000056F4: D3D940A2 18000080
	v_mov_b32_e32 v154, 0                                      // 0000000056FC: 7F340280
	v_accvgpr_write_b32 a163, 0                                // 000000005700: D3D940A3 18000080
	v_mov_b32_e32 v155, 0                                      // 000000005708: 7F360280
	v_accvgpr_write_b32 a164, 0                                // 00000000570C: D3D940A4 18000080
	v_mov_b32_e32 v156, 0                                      // 000000005714: 7F380280
	v_accvgpr_write_b32 a165, 0                                // 000000005718: D3D940A5 18000080
	v_mov_b32_e32 v157, 0                                      // 000000005720: 7F3A0280
	v_accvgpr_write_b32 a166, 0                                // 000000005724: D3D940A6 18000080
	v_mov_b32_e32 v158, 0                                      // 00000000572C: 7F3C0280
	v_accvgpr_write_b32 a167, 0                                // 000000005730: D3D940A7 18000080
	v_mov_b32_e32 v159, 0                                      // 000000005738: 7F3E0280
	v_accvgpr_write_b32 a168, 0                                // 00000000573C: D3D940A8 18000080
	v_mov_b32_e32 v160, 0                                      // 000000005744: 7F400280
	v_accvgpr_write_b32 a169, 0                                // 000000005748: D3D940A9 18000080
	v_mov_b32_e32 v161, 0                                      // 000000005750: 7F420280
	v_accvgpr_write_b32 a170, 0                                // 000000005754: D3D940AA 18000080
	v_mov_b32_e32 v162, 0                                      // 00000000575C: 7F440280
	v_accvgpr_write_b32 a171, 0                                // 000000005760: D3D940AB 18000080
	v_mov_b32_e32 v163, 0                                      // 000000005768: 7F460280
	v_accvgpr_write_b32 a172, 0                                // 00000000576C: D3D940AC 18000080
	v_mov_b32_e32 v164, 0                                      // 000000005774: 7F480280
	v_accvgpr_write_b32 a173, 0                                // 000000005778: D3D940AD 18000080
	v_mov_b32_e32 v165, 0                                      // 000000005780: 7F4A0280
	v_accvgpr_write_b32 a174, 0                                // 000000005784: D3D940AE 18000080
	v_mov_b32_e32 v166, 0                                      // 00000000578C: 7F4C0280
	v_accvgpr_write_b32 a175, 0                                // 000000005790: D3D940AF 18000080
	v_mov_b32_e32 v167, 0                                      // 000000005798: 7F4E0280
	v_accvgpr_write_b32 a176, 0                                // 00000000579C: D3D940B0 18000080
	v_mov_b32_e32 v168, 0                                      // 0000000057A4: 7F500280
	v_accvgpr_write_b32 a177, 0                                // 0000000057A8: D3D940B1 18000080
	v_mov_b32_e32 v169, 0                                      // 0000000057B0: 7F520280
	v_accvgpr_write_b32 a178, 0                                // 0000000057B4: D3D940B2 18000080
	v_mov_b32_e32 v170, 0                                      // 0000000057BC: 7F540280
	v_accvgpr_write_b32 a179, 0                                // 0000000057C0: D3D940B3 18000080
	v_mov_b32_e32 v171, 0                                      // 0000000057C8: 7F560280
	v_accvgpr_write_b32 a180, 0                                // 0000000057CC: D3D940B4 18000080
	v_mov_b32_e32 v172, 0                                      // 0000000057D4: 7F580280
	v_accvgpr_write_b32 a181, 0                                // 0000000057D8: D3D940B5 18000080
	v_mov_b32_e32 v173, 0                                      // 0000000057E0: 7F5A0280
	v_accvgpr_write_b32 a182, 0                                // 0000000057E4: D3D940B6 18000080
	v_mov_b32_e32 v174, 0                                      // 0000000057EC: 7F5C0280
	v_accvgpr_write_b32 a183, 0                                // 0000000057F0: D3D940B7 18000080
	v_mov_b32_e32 v175, 0                                      // 0000000057F8: 7F5E0280
	v_accvgpr_write_b32 a184, 0                                // 0000000057FC: D3D940B8 18000080
	v_mov_b32_e32 v176, 0                                      // 000000005804: 7F600280
	v_accvgpr_write_b32 a185, 0                                // 000000005808: D3D940B9 18000080
	v_mov_b32_e32 v177, 0                                      // 000000005810: 7F620280
	v_accvgpr_write_b32 a186, 0                                // 000000005814: D3D940BA 18000080
	v_mov_b32_e32 v178, 0                                      // 00000000581C: 7F640280
	v_accvgpr_write_b32 a187, 0                                // 000000005820: D3D940BB 18000080
	v_mov_b32_e32 v179, 0                                      // 000000005828: 7F660280
	v_accvgpr_write_b32 a188, 0                                // 00000000582C: D3D940BC 18000080
	v_mov_b32_e32 v180, 0                                      // 000000005834: 7F680280
	v_accvgpr_write_b32 a189, 0                                // 000000005838: D3D940BD 18000080
	v_mov_b32_e32 v181, 0                                      // 000000005840: 7F6A0280
	v_accvgpr_write_b32 a190, 0                                // 000000005844: D3D940BE 18000080
	v_mov_b32_e32 v182, 0                                      // 00000000584C: 7F6C0280
	v_accvgpr_write_b32 a191, 0                                // 000000005850: D3D940BF 18000080
	v_mov_b32_e32 v183, 0                                      // 000000005858: 7F6E0280
	v_accvgpr_write_b32 a192, 0                                // 00000000585C: D3D940C0 18000080
	v_mov_b32_e32 v184, 0                                      // 000000005864: 7F700280
	v_accvgpr_write_b32 a193, 0                                // 000000005868: D3D940C1 18000080
	v_mov_b32_e32 v185, 0                                      // 000000005870: 7F720280
	v_accvgpr_write_b32 a194, 0                                // 000000005874: D3D940C2 18000080
	v_mov_b32_e32 v186, 0                                      // 00000000587C: 7F740280
	v_accvgpr_write_b32 a195, 0                                // 000000005880: D3D940C3 18000080
	v_mov_b32_e32 v187, 0                                      // 000000005888: 7F760280
	v_accvgpr_write_b32 a196, 0                                // 00000000588C: D3D940C4 18000080
	v_mov_b32_e32 v188, 0                                      // 000000005894: 7F780280
	v_accvgpr_write_b32 a197, 0                                // 000000005898: D3D940C5 18000080
	v_mov_b32_e32 v189, 0                                      // 0000000058A0: 7F7A0280
	v_accvgpr_write_b32 a198, 0                                // 0000000058A4: D3D940C6 18000080
	v_mov_b32_e32 v190, 0                                      // 0000000058AC: 7F7C0280
	v_accvgpr_write_b32 a199, 0                                // 0000000058B0: D3D940C7 18000080
	v_mov_b32_e32 v191, 0                                      // 0000000058B8: 7F7E0280
	v_accvgpr_write_b32 a200, 0                                // 0000000058BC: D3D940C8 18000080
	v_mov_b32_e32 v192, 0                                      // 0000000058C4: 7F800280
	v_accvgpr_write_b32 a201, 0                                // 0000000058C8: D3D940C9 18000080
	v_mov_b32_e32 v193, 0                                      // 0000000058D0: 7F820280
	v_accvgpr_write_b32 a202, 0                                // 0000000058D4: D3D940CA 18000080
	v_mov_b32_e32 v194, 0                                      // 0000000058DC: 7F840280
	v_accvgpr_write_b32 a203, 0                                // 0000000058E0: D3D940CB 18000080
	v_mov_b32_e32 v195, 0                                      // 0000000058E8: 7F860280
	v_accvgpr_write_b32 a204, 0                                // 0000000058EC: D3D940CC 18000080
	v_mov_b32_e32 v196, 0                                      // 0000000058F4: 7F880280
	v_accvgpr_write_b32 a205, 0                                // 0000000058F8: D3D940CD 18000080
	v_mov_b32_e32 v197, 0                                      // 000000005900: 7F8A0280
	v_accvgpr_write_b32 a206, 0                                // 000000005904: D3D940CE 18000080
	v_mov_b32_e32 v198, 0                                      // 00000000590C: 7F8C0280
	v_accvgpr_write_b32 a207, 0                                // 000000005910: D3D940CF 18000080
	v_mov_b32_e32 v199, 0                                      // 000000005918: 7F8E0280
	v_accvgpr_write_b32 a208, 0                                // 00000000591C: D3D940D0 18000080
	v_mov_b32_e32 v200, 0                                      // 000000005924: 7F900280
	v_accvgpr_write_b32 a209, 0                                // 000000005928: D3D940D1 18000080
	v_mov_b32_e32 v201, 0                                      // 000000005930: 7F920280
	v_accvgpr_write_b32 a210, 0                                // 000000005934: D3D940D2 18000080
	v_mov_b32_e32 v202, 0                                      // 00000000593C: 7F940280
	v_accvgpr_write_b32 a211, 0                                // 000000005940: D3D940D3 18000080
	v_mov_b32_e32 v203, 0                                      // 000000005948: 7F960280
	v_accvgpr_write_b32 a212, 0                                // 00000000594C: D3D940D4 18000080
	v_mov_b32_e32 v204, 0                                      // 000000005954: 7F980280
	v_accvgpr_write_b32 a213, 0                                // 000000005958: D3D940D5 18000080
	v_mov_b32_e32 v205, 0                                      // 000000005960: 7F9A0280
	v_accvgpr_write_b32 a214, 0                                // 000000005964: D3D940D6 18000080
	v_mov_b32_e32 v206, 0                                      // 00000000596C: 7F9C0280
	v_accvgpr_write_b32 a215, 0                                // 000000005970: D3D940D7 18000080
	v_mov_b32_e32 v207, 0                                      // 000000005978: 7F9E0280
	v_accvgpr_write_b32 a216, 0                                // 00000000597C: D3D940D8 18000080
	v_mov_b32_e32 v208, 0                                      // 000000005984: 7FA00280
	v_accvgpr_write_b32 a217, 0                                // 000000005988: D3D940D9 18000080
	v_mov_b32_e32 v209, 0                                      // 000000005990: 7FA20280
	v_accvgpr_write_b32 a218, 0                                // 000000005994: D3D940DA 18000080
	v_mov_b32_e32 v210, 0                                      // 00000000599C: 7FA40280
	v_accvgpr_write_b32 a219, 0                                // 0000000059A0: D3D940DB 18000080
	v_mov_b32_e32 v211, 0                                      // 0000000059A8: 7FA60280
	v_accvgpr_write_b32 a220, 0                                // 0000000059AC: D3D940DC 18000080
	v_mov_b32_e32 v212, 0                                      // 0000000059B4: 7FA80280
	v_accvgpr_write_b32 a221, 0                                // 0000000059B8: D3D940DD 18000080
	v_mov_b32_e32 v213, 0                                      // 0000000059C0: 7FAA0280
	v_accvgpr_write_b32 a222, 0                                // 0000000059C4: D3D940DE 18000080
	v_mov_b32_e32 v214, 0                                      // 0000000059CC: 7FAC0280
	v_accvgpr_write_b32 a223, 0                                // 0000000059D0: D3D940DF 18000080
	v_mov_b32_e32 v215, 0                                      // 0000000059D8: 7FAE0280
	v_accvgpr_write_b32 a224, 0                                // 0000000059DC: D3D940E0 18000080
	v_mov_b32_e32 v216, 0                                      // 0000000059E4: 7FB00280
	v_accvgpr_write_b32 a225, 0                                // 0000000059E8: D3D940E1 18000080
	v_mov_b32_e32 v217, 0                                      // 0000000059F0: 7FB20280
	v_accvgpr_write_b32 a226, 0                                // 0000000059F4: D3D940E2 18000080
	v_mov_b32_e32 v218, 0                                      // 0000000059FC: 7FB40280
	v_accvgpr_write_b32 a227, 0                                // 000000005A00: D3D940E3 18000080
	v_mov_b32_e32 v219, 0                                      // 000000005A08: 7FB60280
	v_accvgpr_write_b32 a228, 0                                // 000000005A0C: D3D940E4 18000080
	v_mov_b32_e32 v220, 0                                      // 000000005A14: 7FB80280
	v_accvgpr_write_b32 a229, 0                                // 000000005A18: D3D940E5 18000080
	v_mov_b32_e32 v221, 0                                      // 000000005A20: 7FBA0280
	v_accvgpr_write_b32 a230, 0                                // 000000005A24: D3D940E6 18000080
	v_mov_b32_e32 v222, 0                                      // 000000005A2C: 7FBC0280
	v_accvgpr_write_b32 a231, 0                                // 000000005A30: D3D940E7 18000080
	v_mov_b32_e32 v223, 0                                      // 000000005A38: 7FBE0280
	v_accvgpr_write_b32 a232, 0                                // 000000005A3C: D3D940E8 18000080
	v_mov_b32_e32 v224, 0                                      // 000000005A44: 7FC00280
	v_accvgpr_write_b32 a233, 0                                // 000000005A48: D3D940E9 18000080
	v_mov_b32_e32 v225, 0                                      // 000000005A50: 7FC20280
	v_accvgpr_write_b32 a234, 0                                // 000000005A54: D3D940EA 18000080
	v_mov_b32_e32 v226, 0                                      // 000000005A5C: 7FC40280
	v_accvgpr_write_b32 a235, 0                                // 000000005A60: D3D940EB 18000080
	v_mov_b32_e32 v227, 0                                      // 000000005A68: 7FC60280
	v_accvgpr_write_b32 a236, 0                                // 000000005A6C: D3D940EC 18000080
	v_mov_b32_e32 v228, 0                                      // 000000005A74: 7FC80280
	v_accvgpr_write_b32 a237, 0                                // 000000005A78: D3D940ED 18000080
	v_mov_b32_e32 v229, 0                                      // 000000005A80: 7FCA0280
	v_accvgpr_write_b32 a238, 0                                // 000000005A84: D3D940EE 18000080
	v_mov_b32_e32 v230, 0                                      // 000000005A8C: 7FCC0280
	v_accvgpr_write_b32 a239, 0                                // 000000005A90: D3D940EF 18000080
	v_mov_b32_e32 v231, 0                                      // 000000005A98: 7FCE0280
	v_accvgpr_write_b32 a240, 0                                // 000000005A9C: D3D940F0 18000080
	v_mov_b32_e32 v232, 0                                      // 000000005AA4: 7FD00280
	v_accvgpr_write_b32 a241, 0                                // 000000005AA8: D3D940F1 18000080
	v_mov_b32_e32 v233, 0                                      // 000000005AB0: 7FD20280
	v_accvgpr_write_b32 a242, 0                                // 000000005AB4: D3D940F2 18000080
	v_mov_b32_e32 v234, 0                                      // 000000005ABC: 7FD40280
	v_accvgpr_write_b32 a243, 0                                // 000000005AC0: D3D940F3 18000080
	v_mov_b32_e32 v235, 0                                      // 000000005AC8: 7FD60280
	v_accvgpr_write_b32 a244, 0                                // 000000005ACC: D3D940F4 18000080
	v_mov_b32_e32 v236, 0                                      // 000000005AD4: 7FD80280
	v_accvgpr_write_b32 a245, 0                                // 000000005AD8: D3D940F5 18000080
	v_mov_b32_e32 v237, 0                                      // 000000005AE0: 7FDA0280
	v_accvgpr_write_b32 a246, 0                                // 000000005AE4: D3D940F6 18000080
	v_mov_b32_e32 v238, 0                                      // 000000005AEC: 7FDC0280
	v_accvgpr_write_b32 a247, 0                                // 000000005AF0: D3D940F7 18000080
	v_mov_b32_e32 v239, 0                                      // 000000005AF8: 7FDE0280
	v_accvgpr_write_b32 a248, 0                                // 000000005AFC: D3D940F8 18000080
	v_mov_b32_e32 v240, 0                                      // 000000005B04: 7FE00280
	v_accvgpr_write_b32 a249, 0                                // 000000005B08: D3D940F9 18000080
	v_mov_b32_e32 v241, 0                                      // 000000005B10: 7FE20280
	v_accvgpr_write_b32 a250, 0                                // 000000005B14: D3D940FA 18000080
	v_mov_b32_e32 v242, 0                                      // 000000005B1C: 7FE40280
	v_accvgpr_write_b32 a251, 0                                // 000000005B20: D3D940FB 18000080
	v_mov_b32_e32 v243, 0                                      // 000000005B28: 7FE60280
	v_accvgpr_write_b32 a252, 0                                // 000000005B2C: D3D940FC 18000080
	v_mov_b32_e32 v244, 0                                      // 000000005B34: 7FE80280
	v_accvgpr_write_b32 a253, 0                                // 000000005B38: D3D940FD 18000080
	v_mov_b32_e32 v245, 0                                      // 000000005B40: 7FEA0280
	v_accvgpr_write_b32 a254, 0                                // 000000005B44: D3D940FE 18000080
	v_mov_b32_e32 v246, 0                                      // 000000005B4C: 7FEC0280
	v_accvgpr_write_b32 a255, 0                                // 000000005B50: D3D940FF 18000080
	v_mov_b32_e32 v247, 0                                      // 000000005B58: 7FEE0280
	v_mov_b32_e32 v136, 0                                      // 000000005B5C: 7F100280
	v_mov_b32_e32 v137, 0                                      // 000000005B60: 7F120280
	v_mov_b32_e32 v138, 0                                      // 000000005B64: 7F140280
	v_mov_b32_e32 v139, 0                                      // 000000005B68: 7F160280
	v_mov_b32_e32 v140, 0                                      // 000000005B6C: 7F180280
	v_mov_b32_e32 v141, 0                                      // 000000005B70: 7F1A0280
	v_mov_b32_e32 v142, 0                                      // 000000005B74: 7F1C0280
	v_mov_b32_e32 v143, 0                                      // 000000005B78: 7F1E0280
	v_mov_b32_e32 v128, 0                                      // 000000005B7C: 7F000280
	v_mov_b32_e32 v129, 0                                      // 000000005B80: 7F020280
	v_mov_b32_e32 v130, 0                                      // 000000005B84: 7F040280
	v_mov_b32_e32 v131, 0                                      // 000000005B88: 7F060280
	v_mov_b32_e32 v132, 0                                      // 000000005B8C: 7F080280
	v_mov_b32_e32 v133, 0                                      // 000000005B90: 7F0A0280
	v_mov_b32_e32 v134, 0                                      // 000000005B94: 7F0C0280
	v_mov_b32_e32 v135, 0                                      // 000000005B98: 7F0E0280
	s_waitcnt lgkmcnt(0)                                       // 000000005B9C: BF8CC07F
	s_barrier                                                  // 000000005BA0: BF8A0000
	buffer_load_dword v32, v1, s[8:11], 0 idxen                // 000000005BA4: E0502000 80022001
	buffer_load_dword v33, v2, s[8:11], 0 idxen                // 000000005BAC: E0502000 80022102
	buffer_load_dword v34, v3, s[8:11], 0 idxen                // 000000005BB4: E0502000 80022203
	buffer_load_dword v35, v4, s[8:11], 0 idxen                // 000000005BBC: E0502000 80022304
	buffer_load_dword v40, v1, s[20:23], 0 idxen               // 000000005BC4: E0502000 80052801
	buffer_load_dword v41, v2, s[20:23], 0 idxen               // 000000005BCC: E0502000 80052902
	buffer_load_dword v42, v3, s[20:23], 0 idxen               // 000000005BD4: E0502000 80052A03
	buffer_load_dword v43, v4, s[20:23], 0 idxen               // 000000005BDC: E0502000 80052B04
	buffer_load_dword v9, s[24:27], 0 idxen lds                // 000000005BE4: E0512000 80060009
	s_mov_b32 m0, s79                                          // 000000005BEC: BEFC004F
	v_add_u32_e32 v9, s69, v9                                  // 000000005BF0: 68121245
	s_add_u32 s8, s68, s8                                      // 000000005BF4: 80080844
	s_addc_u32 s9, 0, s9                                       // 000000005BF8: 82090980
	s_add_u32 s20, s68, s20                                    // 000000005BFC: 80141444
	s_addc_u32 s21, 0, s21                                     // 000000005C00: 82151580
	v_mul_f32_e32 v124, s49, v124                              // 000000005C04: 0AF8F831
	v_perm_b32 v84, v37, v36, s63                              // 000000005C08: D1ED0054 00FE4925
	v_perm_b32 v85, v37, v36, s64                              // 000000005C10: D1ED0055 01024925
	v_perm_b32 v86, v39, v38, s63                              // 000000005C18: D1ED0056 00FE4D27
	v_perm_b32 v87, v39, v38, s64                              // 000000005C20: D1ED0057 01024D27
	v_perm_b32 v88, v45, v44, s63                              // 000000005C28: D1ED0058 00FE592D
	v_perm_b32 v89, v45, v44, s64                              // 000000005C30: D1ED0059 0102592D
	v_perm_b32 v90, v47, v46, s63                              // 000000005C38: D1ED005A 00FE5D2F
	v_perm_b32 v91, v47, v46, s64                              // 000000005C40: D1ED005B 01025D2F
	v_mov_b32_dpp v127, v124 quad_perm:[3,3,3,3] row_mask:0xf bank_mask:0xf// 000000005C48: 7EFE02FA FF00FF7C
	v_mov_b32_dpp v126, v124 quad_perm:[2,2,2,2] row_mask:0xf bank_mask:0xf// 000000005C50: 7EFC02FA FF00AA7C
	v_mov_b32_dpp v125, v124 quad_perm:[1,1,1,1] row_mask:0xf bank_mask:0xf// 000000005C58: 7EFA02FA FF00557C
	v_mov_b32_dpp v124, v124 quad_perm:[0,0,0,0] row_mask:0xf bank_mask:0xf// 000000005C60: 7EF802FA FF00007C
	s_waitcnt vmcnt(9)                                         // 000000005C68: BF8C0F79
	s_barrier                                                  // 000000005C6C: BF8A0000
	s_cmp_lt_i32 s47, 2                                        // 000000005C70: BF04822F
	s_cbranch_scc0 label_0D03                                  // 000000005C74: BF840565
	s_nop 0                                                    // 000000005C78: BF800000
	s_nop 0                                                    // 000000005C7C: BF800000
	s_nop 0                                                    // 000000005C80: BF800000
	s_nop 0                                                    // 000000005C84: BF800000
	s_nop 0                                                    // 000000005C88: BF800000

0000000000005c8c <label_07A3>:
	s_waitcnt lgkmcnt(4)                                       // 000000005C8C: BF8CC47F
	s_barrier                                                  // 000000005C90: BF8A0000
	v_mfma_f32_16x16x16_f16 v[48:51], a[144:145], a[0:1], 0    // 000000005C94: D3CD0030 1A020190
	ds_write_b32 v11, v44 offset:8704                          // 000000005C9C: D81A2200 00002C0B
	ds_write_b32 v11, v45 offset:9760                          // 000000005CA4: D81A2620 00002D0B
	v_mfma_f32_16x16x16_f16 v[48:51], a[146:147], a[2:3], v[48:51]// 000000005CAC: D3CD0030 1CC20592
	v_mul_f32_e32 v128, s48, v128                              // 000000005CB4: 0B010030
	v_mul_f32_e32 v129, s48, v129                              // 000000005CB8: 0B030230
	v_mfma_f32_16x16x16_f16 v[48:51], a[148:149], a[4:5], v[48:51]// 000000005CBC: D3CD0030 1CC20994
	ds_write_b32 v11, v46 offset:8832                          // 000000005CC4: D81A2280 00002E0B
	ds_write_b32 v11, v47 offset:9888                          // 000000005CCC: D81A26A0 00002F0B
	v_mfma_f32_16x16x16_f16 v[48:51], a[150:151], a[6:7], v[48:51]// 000000005CD4: D3CD0030 1CC20D96
	v_mul_f32_e32 v130, s48, v130                              // 000000005CDC: 0B050430
	v_mul_f32_e32 v131, s48, v131                              // 000000005CE0: 0B070630
	v_mfma_f32_16x16x16_f16 v[48:51], a[152:153], a[8:9], v[48:51]// 000000005CE4: D3CD0030 1CC21198
	v_mul_f32_e32 v132, s48, v132                              // 000000005CEC: 0B090830
	v_mul_f32_e32 v133, s48, v133                              // 000000005CF0: 0B0B0A30
	v_mfma_f32_16x16x16_f16 v[48:51], a[154:155], a[10:11], v[48:51]// 000000005CF4: D3CD0030 1CC2159A
	v_mul_f32_e32 v134, s48, v134                              // 000000005CFC: 0B0D0C30
	v_mul_f32_e32 v135, s48, v135                              // 000000005D00: 0B0F0E30
	v_mfma_f32_16x16x16_f16 v[48:51], a[156:157], a[12:13], v[48:51]// 000000005D04: D3CD0030 1CC2199C
	v_cvt_pkrtz_f16_f32 v128, v128, v129                       // 000000005D0C: D2960080 00030380
	v_cvt_pkrtz_f16_f32 v129, v130, v131                       // 000000005D14: D2960081 00030782
	v_mfma_f32_16x16x16_f16 v[48:51], a[158:159], a[14:15], v[48:51]// 000000005D1C: D3CD0030 1CC21D9E
	v_cvt_pkrtz_f16_f32 v130, v132, v133                       // 000000005D24: D2960082 00030B84
	v_cvt_pkrtz_f16_f32 v131, v134, v135                       // 000000005D2C: D2960083 00030F86
	v_mfma_f32_16x16x16_f16 v[52:55], a[144:145], a[16:17], 0  // 000000005D34: D3CD0034 1A022190
	ds_write_b64 v20, v[128:129] offset:24320                  // 000000005D3C: D89A5F00 00008014
	v_mfma_f32_16x16x16_f16 v[52:55], a[146:147], a[18:19], v[52:55]// 000000005D44: D3CD0034 1CD22592
	v_mfma_f32_16x16x16_f16 v[52:55], a[148:149], a[20:21], v[52:55]// 000000005D4C: D3CD0034 1CD22994
	ds_write_b64 v20, v[130:131] offset:24864                  // 000000005D54: D89A6120 00008214
	v_mfma_f32_16x16x16_f16 v[52:55], a[150:151], a[22:23], v[52:55]// 000000005D5C: D3CD0034 1CD22D96
	v_mfma_f32_16x16x16_f16 v[52:55], a[152:153], a[24:25], v[52:55]// 000000005D64: D3CD0034 1CD23198
	ds_read_b128 v[108:111], v12 offset:13056                  // 000000005D6C: D9FE3300 6C00000C
	ds_write_b32 v11, v36                                      // 000000005D74: D81A0000 0000240B
	v_mfma_f32_16x16x16_f16 v[52:55], a[154:155], a[26:27], v[52:55]// 000000005D7C: D3CD0034 1CD2359A
	v_mfma_f32_16x16x16_f16 v[52:55], a[156:157], a[28:29], v[52:55]// 000000005D84: D3CD0034 1CD2399C
	v_mfma_f32_16x16x16_f16 v[52:55], a[158:159], a[30:31], v[52:55]// 000000005D8C: D3CD0034 1CD23D9E
	ds_read_b128 v[112:115], v12 offset:13568                  // 000000005D94: D9FE3500 7000000C
	ds_write_b32 v11, v37 offset:1056                          // 000000005D9C: D81A0420 0000250B
	v_mfma_f32_16x16x16_f16 v[56:59], a[144:145], a[32:33], 0  // 000000005DA4: D3CD0038 1A024190
	v_mfma_f32_16x16x16_f16 v[56:59], a[146:147], a[34:35], v[56:59]// 000000005DAC: D3CD0038 1CE24592
	v_mfma_f32_16x16x16_f16 v[56:59], a[148:149], a[36:37], v[56:59]// 000000005DB4: D3CD0038 1CE24994
	ds_read_b128 v[116:119], v12 offset:15232                  // 000000005DBC: D9FE3B80 7400000C
	ds_write_b32 v11, v38 offset:128                           // 000000005DC4: D81A0080 0000260B
	v_mfma_f32_16x16x16_f16 v[56:59], a[150:151], a[38:39], v[56:59]// 000000005DCC: D3CD0038 1CE24D96
	v_mfma_f32_16x16x16_f16 v[56:59], a[152:153], a[40:41], v[56:59]// 000000005DD4: D3CD0038 1CE25198
	v_mfma_f32_16x16x16_f16 v[56:59], a[154:155], a[42:43], v[56:59]// 000000005DDC: D3CD0038 1CE2559A
	ds_read_b128 v[120:123], v12 offset:15744                  // 000000005DE4: D9FE3D80 7800000C
	ds_write_b32 v11, v39 offset:1184                          // 000000005DEC: D81A04A0 0000270B
	v_mfma_f32_16x16x16_f16 v[56:59], a[156:157], a[44:45], v[56:59]// 000000005DF4: D3CD0038 1CE2599C
	v_mfma_f32_16x16x16_f16 v[56:59], a[158:159], a[46:47], v[56:59]// 000000005DFC: D3CD0038 1CE25D9E
	s_cmp_lt_i32 s74, 12                                       // 000000005E04: BF048C4A
	s_cbranch_scc0 label_0878                                  // 000000005E08: BF840075
	s_mov_b32 s60, 0xffe0fffe                                  // 000000005E0C: BEBC00FF FFE0FFFE
	s_mov_b32 s61, 0xe000fe00                                  // 000000005E14: BEBD00FF E000FE00
	s_nop 0                                                    // 000000005E1C: BF800000
	s_add_u32 s62, 0, s47                                      // 000000005E20: 803E2F80
	s_cmp_lt_i32 s74, s62                                      // 000000005E24: BF043E4A
	s_cbranch_scc1 label_0833                                  // 000000005E28: BF850028
	s_cmp_eq_i32 s74, s62                                      // 000000005E2C: BF003E4A
	s_cbranch_scc1 label_0818                                  // 000000005E30: BF85000B
	s_add_u32 s62, 4, s47                                      // 000000005E34: 803E2F84
	s_cmp_lt_i32 s74, s62                                      // 000000005E38: BF043E4A
	s_cbranch_scc1 label_0853                                  // 000000005E3C: BF850043
	s_cmp_eq_i32 s74, s62                                      // 000000005E40: BF003E4A
	s_cbranch_scc1 label_0838                                  // 000000005E44: BF850026
	s_add_u32 s62, 8, s47                                      // 000000005E48: 803E2F88
	s_cmp_lt_i32 s74, s62                                      // 000000005E4C: BF043E4A
	s_cbranch_scc1 label_0873                                  // 000000005E50: BF85005E
	s_cmp_eq_i32 s74, s62                                      // 000000005E54: BF003E4A
	s_cbranch_scc1 label_0858                                  // 000000005E58: BF850041
	s_branch label_0878                                        // 000000005E5C: BF820060

0000000000005e60 <label_0818>:
	v_cndmask_b32_e64 v48, v48, v151, s[60:61]                 // 000000005E60: D1000030 00F32F30
	s_lshl_b32 s60, s60, 1                                     // 000000005E68: 8E3C813C
	s_lshl_b32 s61, s61, 1                                     // 000000005E6C: 8E3D813D
	s_and_b32 s60, 0xfffeffff, s60                             // 000000005E70: 863C3CFF FFFEFFFF
	s_and_b32 s61, 0xfffeffff, s61                             // 000000005E78: 863D3DFF FFFEFFFF
	v_cndmask_b32_e64 v49, v49, v151, s[60:61]                 // 000000005E80: D1000031 00F32F31
	s_lshl_b32 s60, s60, 1                                     // 000000005E88: 8E3C813C
	s_lshl_b32 s61, s61, 1                                     // 000000005E8C: 8E3D813D
	s_and_b32 s60, 0xfffeffff, s60                             // 000000005E90: 863C3CFF FFFEFFFF
	s_and_b32 s61, 0xfffeffff, s61                             // 000000005E98: 863D3DFF FFFEFFFF
	v_cndmask_b32_e64 v50, v50, v151, s[60:61]                 // 000000005EA0: D1000032 00F32F32
	s_lshl_b32 s60, s60, 1                                     // 000000005EA8: 8E3C813C
	s_lshl_b32 s61, s61, 1                                     // 000000005EAC: 8E3D813D
	s_and_b32 s60, 0xfffeffff, s60                             // 000000005EB0: 863C3CFF FFFEFFFF
	s_and_b32 s61, 0xfffeffff, s61                             // 000000005EB8: 863D3DFF FFFEFFFF
	v_cndmask_b32_e64 v51, v51, v151, s[60:61]                 // 000000005EC0: D1000033 00F32F33
	s_branch label_0853                                        // 000000005EC8: BF820020

0000000000005ecc <label_0833>:
	v_mov_b32_e32 v48, v151                                    // 000000005ECC: 7E600397
	v_mov_b32_e32 v49, v151                                    // 000000005ED0: 7E620397
	v_mov_b32_e32 v50, v151                                    // 000000005ED4: 7E640397
	v_mov_b32_e32 v51, v151                                    // 000000005ED8: 7E660397
	s_branch label_0853                                        // 000000005EDC: BF82001B

0000000000005ee0 <label_0838>:
	v_cndmask_b32_e64 v52, v52, v151, s[60:61]                 // 000000005EE0: D1000034 00F32F34
	s_lshl_b32 s60, s60, 1                                     // 000000005EE8: 8E3C813C
	s_lshl_b32 s61, s61, 1                                     // 000000005EEC: 8E3D813D
	s_and_b32 s60, 0xfffeffff, s60                             // 000000005EF0: 863C3CFF FFFEFFFF
	s_and_b32 s61, 0xfffeffff, s61                             // 000000005EF8: 863D3DFF FFFEFFFF
	v_cndmask_b32_e64 v53, v53, v151, s[60:61]                 // 000000005F00: D1000035 00F32F35
	s_lshl_b32 s60, s60, 1                                     // 000000005F08: 8E3C813C
	s_lshl_b32 s61, s61, 1                                     // 000000005F0C: 8E3D813D
	s_and_b32 s60, 0xfffeffff, s60                             // 000000005F10: 863C3CFF FFFEFFFF
	s_and_b32 s61, 0xfffeffff, s61                             // 000000005F18: 863D3DFF FFFEFFFF
	v_cndmask_b32_e64 v54, v54, v151, s[60:61]                 // 000000005F20: D1000036 00F32F36
	s_lshl_b32 s60, s60, 1                                     // 000000005F28: 8E3C813C
	s_lshl_b32 s61, s61, 1                                     // 000000005F2C: 8E3D813D
	s_and_b32 s60, 0xfffeffff, s60                             // 000000005F30: 863C3CFF FFFEFFFF
	s_and_b32 s61, 0xfffeffff, s61                             // 000000005F38: 863D3DFF FFFEFFFF
	v_cndmask_b32_e64 v55, v55, v151, s[60:61]                 // 000000005F40: D1000037 00F32F37
	s_branch label_0873                                        // 000000005F48: BF820020

0000000000005f4c <label_0853>:
	v_mov_b32_e32 v52, v151                                    // 000000005F4C: 7E680397
	v_mov_b32_e32 v53, v151                                    // 000000005F50: 7E6A0397
	v_mov_b32_e32 v54, v151                                    // 000000005F54: 7E6C0397
	v_mov_b32_e32 v55, v151                                    // 000000005F58: 7E6E0397
	s_branch label_0873                                        // 000000005F5C: BF82001B

0000000000005f60 <label_0858>:
	v_cndmask_b32_e64 v56, v56, v151, s[60:61]                 // 000000005F60: D1000038 00F32F38
	s_lshl_b32 s60, s60, 1                                     // 000000005F68: 8E3C813C
	s_lshl_b32 s61, s61, 1                                     // 000000005F6C: 8E3D813D
	s_and_b32 s60, 0xfffeffff, s60                             // 000000005F70: 863C3CFF FFFEFFFF
	s_and_b32 s61, 0xfffeffff, s61                             // 000000005F78: 863D3DFF FFFEFFFF
	v_cndmask_b32_e64 v57, v57, v151, s[60:61]                 // 000000005F80: D1000039 00F32F39
	s_lshl_b32 s60, s60, 1                                     // 000000005F88: 8E3C813C
	s_lshl_b32 s61, s61, 1                                     // 000000005F8C: 8E3D813D
	s_and_b32 s60, 0xfffeffff, s60                             // 000000005F90: 863C3CFF FFFEFFFF
	s_and_b32 s61, 0xfffeffff, s61                             // 000000005F98: 863D3DFF FFFEFFFF
	v_cndmask_b32_e64 v58, v58, v151, s[60:61]                 // 000000005FA0: D100003A 00F32F3A
	s_lshl_b32 s60, s60, 1                                     // 000000005FA8: 8E3C813C
	s_lshl_b32 s61, s61, 1                                     // 000000005FAC: 8E3D813D
	s_and_b32 s60, 0xfffeffff, s60                             // 000000005FB0: 863C3CFF FFFEFFFF
	s_and_b32 s61, 0xfffeffff, s61                             // 000000005FB8: 863D3DFF FFFEFFFF
	v_cndmask_b32_e64 v59, v59, v151, s[60:61]                 // 000000005FC0: D100003B 00F32F3B
	s_branch label_0878                                        // 000000005FC8: BF820005

0000000000005fcc <label_0873>:
	v_mov_b32_e32 v56, v151                                    // 000000005FCC: 7E700397
	v_mov_b32_e32 v57, v151                                    // 000000005FD0: 7E720397
	v_mov_b32_e32 v58, v151                                    // 000000005FD4: 7E740397
	v_mov_b32_e32 v59, v151                                    // 000000005FD8: 7E760397
	s_branch label_0878                                        // 000000005FDC: BF820000

0000000000005fe0 <label_0878>:
	s_addk_i32 s74, 0x1                                        // 000000005FE0: B74A0001
	s_waitcnt lgkmcnt(8)                                       // 000000005FE4: BF8CC87F
	s_barrier                                                  // 000000005FE8: BF8A0000
	v_mfma_f32_16x16x16_f16 v[72:75], v[92:93], a[96:97], 0    // 000000005FEC: D3CD0048 1202C15C
	ds_read_b128 a[144:147], v12 offset:4352                   // 000000005FF4: DBFE1100 9000000C
	ds_read_b128 a[148:151], v12 offset:4864                   // 000000005FFC: DBFE1300 9400000C
	v_mfma_f32_16x16x16_f16 v[72:75], v[94:95], a[98:99], v[72:75]// 000000006004: D3CD0048 1522C55E
	v_fma_f32 v48, v48, s57, -v124                             // 00000000600C: D1CB0030 85F07330
	v_fma_f32 v49, v49, s57, -v125                             // 000000006014: D1CB0031 85F47331
	v_fma_f32 v50, v50, s57, -v126                             // 00000000601C: D1CB0032 85F87332
	v_mfma_f32_16x16x16_f16 v[72:75], v[96:97], a[100:101], v[72:75]// 000000006024: D3CD0048 1522C960
	v_fma_f32 v51, v51, s57, -v127                             // 00000000602C: D1CB0033 85FC7333
	v_fma_f32 v52, v52, s57, -v124                             // 000000006034: D1CB0034 85F07334
	v_fma_f32 v53, v53, s57, -v125                             // 00000000603C: D1CB0035 85F47335
	v_mfma_f32_16x16x16_f16 v[72:75], v[98:99], a[102:103], v[72:75]// 000000006044: D3CD0048 1522CD62
	v_fma_f32 v54, v54, s57, -v126                             // 00000000604C: D1CB0036 85F87336
	v_fma_f32 v55, v55, s57, -v127                             // 000000006054: D1CB0037 85FC7337
	v_fma_f32 v56, v56, s57, -v124                             // 00000000605C: D1CB0038 85F07338
	v_mfma_f32_16x16x16_f16 v[72:75], v[100:101], a[104:105], v[72:75]// 000000006064: D3CD0048 1522D164
	ds_read_b128 a[152:155], v12 offset:6528                   // 00000000606C: DBFE1980 9800000C
	ds_read_b128 a[156:159], v12 offset:7040                   // 000000006074: DBFE1B80 9C00000C
	v_mfma_f32_16x16x16_f16 v[72:75], v[102:103], a[106:107], v[72:75]// 00000000607C: D3CD0048 1522D566
	v_fma_f32 v57, v57, s57, -v125                             // 000000006084: D1CB0039 85F47339
	v_fma_f32 v58, v58, s57, -v126                             // 00000000608C: D1CB003A 85F8733A
	v_fma_f32 v59, v59, s57, -v127                             // 000000006094: D1CB003B 85FC733B
	v_mfma_f32_16x16x16_f16 v[72:75], v[104:105], a[108:109], v[72:75]// 00000000609C: D3CD0048 1522D968
	v_exp_f32_e32 v48, v48                                     // 0000000060A4: 7E604130
	v_mfma_f32_16x16x16_f16 v[72:75], v[106:107], a[110:111], v[72:75]// 0000000060A8: D3CD0048 1522DD6A
	v_exp_f32_e32 v49, v49                                     // 0000000060B0: 7E624131
	v_mfma_f32_16x16x16_f16 v[76:79], v[92:93], a[112:113], 0  // 0000000060B4: D3CD004C 1202E15C
	ds_read_b32 v136, v19 offset:24320                         // 0000000060BC: D86C5F00 88000013
	ds_read_b32 v137, v19 offset:24336                         // 0000000060C4: D86C5F10 89000013
	v_mfma_f32_16x16x16_f16 v[76:79], v[94:95], a[114:115], v[76:79]// 0000000060CC: D3CD004C 1532E55E
	v_exp_f32_e32 v50, v50                                     // 0000000060D4: 7E644132
	v_mfma_f32_16x16x16_f16 v[76:79], v[96:97], a[116:117], v[76:79]// 0000000060D8: D3CD004C 1532E960
	ds_read_b32 v138, v19 offset:26496                         // 0000000060E0: D86C6780 8A000013
	ds_read_b32 v139, v19 offset:26512                         // 0000000060E8: D86C6790 8B000013
	v_mfma_f32_16x16x16_f16 v[76:79], v[98:99], a[118:119], v[76:79]// 0000000060F0: D3CD004C 1532ED62
	v_exp_f32_e32 v51, v51                                     // 0000000060F8: 7E664133
	v_mfma_f32_16x16x16_f16 v[76:79], v[100:101], a[120:121], v[76:79]// 0000000060FC: D3CD004C 1532F164
	v_exp_f32_e32 v52, v52                                     // 000000006104: 7E684134
	v_mfma_f32_16x16x16_f16 v[76:79], v[102:103], a[122:123], v[76:79]// 000000006108: D3CD004C 1532F566
	v_exp_f32_e32 v53, v53                                     // 000000006110: 7E6A4135
	v_mfma_f32_16x16x16_f16 v[76:79], v[104:105], a[124:125], v[76:79]// 000000006114: D3CD004C 1532F968
	v_exp_f32_e32 v54, v54                                     // 00000000611C: 7E6C4136
	v_mfma_f32_16x16x16_f16 v[76:79], v[106:107], a[126:127], v[76:79]// 000000006120: D3CD004C 1532FD6A
	v_exp_f32_e32 v55, v55                                     // 000000006128: 7E6E4137
	v_mfma_f32_16x16x16_f16 v[80:83], v[92:93], a[128:129], 0  // 00000000612C: D3CD0050 1203015C
	v_exp_f32_e32 v56, v56                                     // 000000006134: 7E704138
	v_mfma_f32_16x16x16_f16 v[80:83], v[94:95], a[130:131], v[80:83]// 000000006138: D3CD0050 1543055E
	v_exp_f32_e32 v57, v57                                     // 000000006140: 7E724139
	v_mfma_f32_16x16x16_f16 v[80:83], v[96:97], a[132:133], v[80:83]// 000000006144: D3CD0050 15430960
	v_exp_f32_e32 v58, v58                                     // 00000000614C: 7E74413A
	v_mfma_f32_16x16x16_f16 v[80:83], v[98:99], a[134:135], v[80:83]// 000000006150: D3CD0050 15430D62
	v_exp_f32_e32 v59, v59                                     // 000000006158: 7E76413B
	v_mfma_f32_16x16x16_f16 v[80:83], v[100:101], a[136:137], v[80:83]// 00000000615C: D3CD0050 15431164
	v_cvt_pkrtz_f16_f32 v144, v48, v49                         // 000000006164: D2960090 00026330
	v_cvt_pkrtz_f16_f32 v145, v50, v51                         // 00000000616C: D2960091 00026732
	v_cvt_pkrtz_f16_f32 v146, v52, v53                         // 000000006174: D2960092 00026B34
	v_mfma_f32_16x16x16_f16 v[80:83], v[102:103], a[138:139], v[80:83]// 00000000617C: D3CD0050 15431566
	v_cvt_pkrtz_f16_f32 v147, v54, v55                         // 000000006184: D2960093 00026F36
	v_cvt_pkrtz_f16_f32 v148, v56, v57                         // 00000000618C: D2960094 00027338
	v_cvt_pkrtz_f16_f32 v149, v58, v59                         // 000000006194: D2960095 0002773A
	v_mfma_f32_16x16x16_f16 v[80:83], v[104:105], a[140:141], v[80:83]// 00000000619C: D3CD0050 15431968
	s_add_u32 s32, s66, s32                                    // 0000000061A4: 80202042
	s_addc_u32 s33, 0, s33                                     // 0000000061A8: 82212180
	v_mfma_f32_16x16x16_f16 v[80:83], v[106:107], a[142:143], v[80:83]// 0000000061AC: D3CD0050 15431D6A
	s_waitcnt lgkmcnt(0)                                       // 0000000061B4: BF8CC07F
	s_barrier                                                  // 0000000061B8: BF8A0000
	v_mfma_f32_16x16x16_f16 v[152:155], v[108:109], v[144:145], v[152:155]// 0000000061BC: D3CD0098 0663216C
	v_subrev_f32_dpp v72, v150, v72 quad_perm:[0,0,0,0] row_mask:0xf bank_mask:0xf// 0000000061C4: 069090FA FF000096
	v_subrev_f32_dpp v73, v150, v73 quad_perm:[1,1,1,1] row_mask:0xf bank_mask:0xf// 0000000061CC: 069292FA FF005596
	v_subrev_f32_dpp v74, v150, v74 quad_perm:[2,2,2,2] row_mask:0xf bank_mask:0xf// 0000000061D4: 069494FA FF00AA96
	v_mfma_f32_16x16x16_f16 v[156:159], v[110:111], v[144:145], v[156:159]// 0000000061DC: D3CD009C 0673216E
	v_subrev_f32_dpp v75, v150, v75 quad_perm:[3,3,3,3] row_mask:0xf bank_mask:0xf// 0000000061E4: 069696FA FF00FF96
	v_subrev_f32_dpp v76, v150, v76 quad_perm:[0,0,0,0] row_mask:0xf bank_mask:0xf// 0000000061EC: 069898FA FF000096
	v_subrev_f32_dpp v77, v150, v77 quad_perm:[1,1,1,1] row_mask:0xf bank_mask:0xf// 0000000061F4: 069A9AFA FF005596
	v_mfma_f32_16x16x16_f16 v[160:163], v[112:113], v[144:145], v[160:163]// 0000000061FC: D3CD00A0 06832170
	v_mul_f32_e32 v72, v48, v72                                // 000000006204: 0A909130
	v_mul_f32_e32 v73, v49, v73                                // 000000006208: 0A929331
	v_mul_f32_e32 v74, v50, v74                                // 00000000620C: 0A949532
	v_mfma_f32_16x16x16_f16 v[164:167], v[114:115], v[144:145], v[164:167]// 000000006210: D3CD00A4 06932172
	v_mul_f32_e32 v75, v51, v75                                // 000000006218: 0A969733
	v_mul_f32_e32 v76, v52, v76                                // 00000000621C: 0A989934
	v_mul_f32_e32 v77, v53, v77                                // 000000006220: 0A9A9B35
	v_mfma_f32_16x16x16_f16 v[168:171], v[116:117], v[144:145], v[168:171]// 000000006224: D3CD00A8 06A32174
	v_cvt_pkrtz_f16_f32 v72, v72, v73                          // 00000000622C: D2960048 00029348
	v_cvt_pkrtz_f16_f32 v73, v74, v75                          // 000000006234: D2960049 0002974A
	v_cvt_pkrtz_f16_f32 v74, v76, v77                          // 00000000623C: D296004A 00029B4C
	v_mfma_f32_16x16x16_f16 v[172:175], v[118:119], v[144:145], v[172:175]// 000000006244: D3CD00AC 06B32176
	v_mov_b32_dpp v16, v72 quad_perm:[1,0,3,2] row_mask:0xf bank_mask:0xf// 00000000624C: 7E2002FA FF00B148
	v_perm_b32 v48, v16, v72, v15                              // 000000006254: D1ED0030 043E9110
	v_mov_b32_dpp v16, v73 quad_perm:[1,0,3,2] row_mask:0xf bank_mask:0xf// 00000000625C: 7E2002FA FF00B149
	v_mfma_f32_16x16x16_f16 v[176:179], v[120:121], v[144:145], v[176:179]// 000000006264: D3CD00B0 06C32178
	v_perm_b32 v49, v16, v73, v15                              // 00000000626C: D1ED0031 043E9310
	v_mov_b32_dpp v16, v74 quad_perm:[1,0,3,2] row_mask:0xf bank_mask:0xf// 000000006274: 7E2002FA FF00B14A
	v_perm_b32 v50, v16, v74, v15                              // 00000000627C: D1ED0032 043E9510
	v_mfma_f32_16x16x16_f16 v[180:183], v[122:123], v[144:145], v[180:183]// 000000006284: D3CD00B4 06D3217A
	ds_write_b32 v18, v48 offset:17408                         // 00000000628C: D81A4400 00003012
	v_mfma_f32_16x16x16_f16 v[184:187], v[108:109], v[146:147], v[184:187]// 000000006294: D3CD00B8 06E3256C
	v_subrev_f32_dpp v78, v150, v78 quad_perm:[2,2,2,2] row_mask:0xf bank_mask:0xf// 00000000629C: 069C9CFA FF00AA96
	v_subrev_f32_dpp v79, v150, v79 quad_perm:[3,3,3,3] row_mask:0xf bank_mask:0xf// 0000000062A4: 069E9EFA FF00FF96
	v_subrev_f32_dpp v80, v150, v80 quad_perm:[0,0,0,0] row_mask:0xf bank_mask:0xf// 0000000062AC: 06A0A0FA FF000096
	v_mfma_f32_16x16x16_f16 v[188:191], v[110:111], v[146:147], v[188:191]// 0000000062B4: D3CD00BC 06F3256E
	ds_write_b32 v18, v49 offset:17952                         // 0000000062BC: D81A4620 00003112
	v_mfma_f32_16x16x16_f16 v[192:195], v[112:113], v[146:147], v[192:195]// 0000000062C4: D3CD00C0 07032570
	v_subrev_f32_dpp v81, v150, v81 quad_perm:[1,1,1,1] row_mask:0xf bank_mask:0xf// 0000000062CC: 06A2A2FA FF005596
	v_subrev_f32_dpp v82, v150, v82 quad_perm:[2,2,2,2] row_mask:0xf bank_mask:0xf// 0000000062D4: 06A4A4FA FF00AA96
	v_subrev_f32_dpp v83, v150, v83 quad_perm:[3,3,3,3] row_mask:0xf bank_mask:0xf// 0000000062DC: 06A6A6FA FF00FF96
	v_mfma_f32_16x16x16_f16 v[196:199], v[114:115], v[146:147], v[196:199]// 0000000062E4: D3CD00C4 07132572
	ds_write_b32 v18, v50 offset:19712                         // 0000000062EC: D81A4D00 00003212
	v_mfma_f32_16x16x16_f16 v[200:203], v[116:117], v[146:147], v[200:203]// 0000000062F4: D3CD00C8 07232574
	v_mul_f32_e32 v78, v54, v78                                // 0000000062FC: 0A9C9D36
	v_mul_f32_e32 v79, v55, v79                                // 000000006300: 0A9E9F37
	v_mul_f32_e32 v80, v56, v80                                // 000000006304: 0AA0A138
	v_mfma_f32_16x16x16_f16 v[204:207], v[118:119], v[146:147], v[204:207]// 000000006308: D3CD00CC 07332576
	v_mul_f32_e32 v81, v57, v81                                // 000000006310: 0AA2A339
	v_mul_f32_e32 v82, v58, v82                                // 000000006314: 0AA4A53A
	v_mul_f32_e32 v83, v59, v83                                // 000000006318: 0AA6A73B
	v_mfma_f32_16x16x16_f16 v[208:211], v[120:121], v[146:147], v[208:211]// 00000000631C: D3CD00D0 07432578
	v_cvt_pkrtz_f16_f32 v75, v78, v79                          // 000000006324: D296004B 00029F4E
	v_cvt_pkrtz_f16_f32 v76, v80, v81                          // 00000000632C: D296004C 0002A350
	v_cvt_pkrtz_f16_f32 v77, v82, v83                          // 000000006334: D296004D 0002A752
	v_mfma_f32_16x16x16_f16 v[212:215], v[122:123], v[146:147], v[212:215]// 00000000633C: D3CD00D4 0753257A
	v_mov_b32_dpp v16, v75 quad_perm:[1,0,3,2] row_mask:0xf bank_mask:0xf// 000000006344: 7E2002FA FF00B14B
	v_perm_b32 v51, v16, v75, v15                              // 00000000634C: D1ED0033 043E9710
	v_mov_b32_dpp v16, v76 quad_perm:[1,0,3,2] row_mask:0xf bank_mask:0xf// 000000006354: 7E2002FA FF00B14C
	v_mfma_f32_16x16x16_f16 v[216:219], v[108:109], v[148:149], v[216:219]// 00000000635C: D3CD00D8 0763296C
	v_perm_b32 v52, v16, v76, v15                              // 000000006364: D1ED0034 043E9910
	v_mov_b32_dpp v16, v77 quad_perm:[1,0,3,2] row_mask:0xf bank_mask:0xf// 00000000636C: 7E2002FA FF00B14D
	v_perm_b32 v53, v16, v77, v15                              // 000000006374: D1ED0035 043E9B10
	v_mfma_f32_16x16x16_f16 v[220:223], v[110:111], v[148:149], v[220:223]// 00000000637C: D3CD00DC 0773296E
	ds_write_b32 v18, v51 offset:20256                         // 000000006384: D81A4F20 00003312
	v_mfma_f32_16x16x16_f16 v[224:227], v[112:113], v[148:149], v[224:227]// 00000000638C: D3CD00E0 07832970
	v_mfma_f32_16x16x16_f16 v[228:231], v[114:115], v[148:149], v[228:231]// 000000006394: D3CD00E4 07932972
	ds_write_b32 v18, v52 offset:22016                         // 00000000639C: D81A5600 00003412
	ds_write_b32 v18, v53 offset:22560                         // 0000000063A4: D81A5820 00003512
	v_mfma_f32_16x16x16_f16 v[232:235], v[116:117], v[148:149], v[232:235]// 0000000063AC: D3CD00E8 07A32974
	v_mfma_f32_16x16x16_f16 v[236:239], v[118:119], v[148:149], v[236:239]// 0000000063B4: D3CD00EC 07B32976
	ds_write_b32 v13, v84 offset:4352                          // 0000000063BC: D81A1100 0000540D
	ds_write_b32 v13, v85 offset:5408                          // 0000000063C4: D81A1520 0000550D
	v_mfma_f32_16x16x16_f16 v[240:243], v[120:121], v[148:149], v[240:243]// 0000000063CC: D3CD00F0 07C32978
	s_nop 0                                                    // 0000000063D4: BF800000
	s_nop 0                                                    // 0000000063D8: BF800000
	s_nop 0                                                    // 0000000063DC: BF800000
	v_mfma_f32_16x16x16_f16 v[244:247], v[122:123], v[148:149], v[244:247]// 0000000063E0: D3CD00F4 07D3297A
	ds_write_b32 v13, v86 offset:4480                          // 0000000063E8: D81A1180 0000560D
	ds_write_b32 v13, v87 offset:5536                          // 0000000063F0: D81A15A0 0000570D
	s_barrier                                                  // 0000000063F8: BF8A0000
	v_mfma_f32_16x16x16_f16 a[160:163], a[144:145], v[72:73], a[160:163]// 0000000063FC: D3CD80A0 0E829190
	buffer_atomic_pk_add_f16 v136, v7, s[32:35], 0 idxen       // 000000006404: E1382000 80088807
	v_mfma_f32_16x16x16_f16 a[164:167], a[146:147], v[72:73], a[164:167]// 00000000640C: D3CD80A4 0E929192
	ds_read_b32 v124, v21 offset:51200                         // 000000006414: D86CC800 7C000015
	ds_read_b32 v150, v21 offset:51456                         // 00000000641C: D86CC900 96000015
	v_mfma_f32_16x16x16_f16 a[168:171], a[148:149], v[72:73], a[168:171]// 000000006424: D3CD80A8 0EA29194
	s_waitcnt lgkmcnt(6)                                       // 00000000642C: BF8CC67F
	s_barrier                                                  // 000000006430: BF8A0000
	v_mfma_f32_16x16x16_f16 a[172:175], a[150:151], v[72:73], a[172:175]// 000000006434: D3CD80AC 0EB29196
	ds_read_b128 v[48:51], v17 offset:17408                    // 00000000643C: D9FE4400 30000011
	v_mfma_f32_16x16x16_f16 a[176:179], a[152:153], v[72:73], a[176:179]// 000000006444: D3CD80B0 0EC29198
	v_mfma_f32_16x16x16_f16 a[180:183], a[154:155], v[72:73], a[180:183]// 00000000644C: D3CD80B4 0ED2919A
	ds_read_b128 v[52:55], v17 offset:18560                    // 000000006454: D9FE4880 34000011
	v_mfma_f32_16x16x16_f16 a[184:187], a[156:157], v[72:73], a[184:187]// 00000000645C: D3CD80B8 0EE2919C
	buffer_atomic_pk_add_f16 v137, v8, s[32:35], 0 idxen       // 000000006464: E1382000 80088908
	v_mfma_f32_16x16x16_f16 a[188:191], a[158:159], v[72:73], a[188:191]// 00000000646C: D3CD80BC 0EF2919E
	ds_read_b128 v[56:59], v17 offset:19712                    // 000000006474: D9FE4D00 38000011
	v_mfma_f32_16x16x16_f16 a[192:195], a[144:145], v[74:75], a[192:195]// 00000000647C: D3CD80C0 0F029590
	v_mfma_f32_16x16x16_f16 a[196:199], a[146:147], v[74:75], a[196:199]// 000000006484: D3CD80C4 0F129592
	ds_read_b128 v[60:63], v17 offset:20864                    // 00000000648C: D9FE5180 3C000011
	v_mfma_f32_16x16x16_f16 a[200:203], a[148:149], v[74:75], a[200:203]// 000000006494: D3CD80C8 0F229594
	v_mfma_f32_16x16x16_f16 a[204:207], a[150:151], v[74:75], a[204:207]// 00000000649C: D3CD80CC 0F329596
	ds_read_b128 v[64:67], v17 offset:22016                    // 0000000064A4: D9FE5600 40000011
	v_mfma_f32_16x16x16_f16 a[208:211], a[152:153], v[74:75], a[208:211]// 0000000064AC: D3CD80D0 0F429598
	buffer_atomic_pk_add_f16 v138, v7, s[32:35], 0 idxen offset:128// 0000000064B4: E1382080 80088A07
	v_mfma_f32_16x16x16_f16 a[212:215], a[154:155], v[74:75], a[212:215]// 0000000064BC: D3CD80D4 0F52959A
	ds_read_b128 v[68:71], v17 offset:23168                    // 0000000064C4: D9FE5A80 44000011
	v_mfma_f32_16x16x16_f16 a[216:219], a[156:157], v[74:75], a[216:219]// 0000000064CC: D3CD80D8 0F62959C
	v_mfma_f32_16x16x16_f16 a[220:223], a[158:159], v[74:75], a[220:223]// 0000000064D4: D3CD80DC 0F72959E
	ds_write_b32 v13, v88 offset:13056                         // 0000000064DC: D81A3300 0000580D
	v_mfma_f32_16x16x16_f16 a[224:227], a[144:145], v[76:77], a[224:227]// 0000000064E4: D3CD80E0 0F829990
	v_mfma_f32_16x16x16_f16 a[228:231], a[146:147], v[76:77], a[228:231]// 0000000064EC: D3CD80E4 0F929992
	ds_write_b32 v13, v89 offset:14112                         // 0000000064F4: D81A3720 0000590D
	v_mfma_f32_16x16x16_f16 a[232:235], a[148:149], v[76:77], a[232:235]// 0000000064FC: D3CD80E8 0FA29994
	buffer_atomic_pk_add_f16 v139, v8, s[32:35], 0 idxen offset:128// 000000006504: E1382080 80088B08
	v_mfma_f32_16x16x16_f16 a[236:239], a[150:151], v[76:77], a[236:239]// 00000000650C: D3CD80EC 0FB29996
	ds_write_b32 v13, v90 offset:13184                         // 000000006514: D81A3380 00005A0D
	v_mfma_f32_16x16x16_f16 a[240:243], a[152:153], v[76:77], a[240:243]// 00000000651C: D3CD80F0 0FC29998
	v_mfma_f32_16x16x16_f16 a[244:247], a[154:155], v[76:77], a[244:247]// 000000006524: D3CD80F4 0FD2999A
	ds_write_b32 v13, v91 offset:14240                         // 00000000652C: D81A37A0 00005B0D
	v_mfma_f32_16x16x16_f16 a[248:251], a[156:157], v[76:77], a[248:251]// 000000006534: D3CD80F8 0FE2999C
	v_mfma_f32_16x16x16_f16 a[252:255], a[158:159], v[76:77], a[252:255]// 00000000653C: D3CD80FC 0FF2999E
	s_waitcnt vmcnt(4) lgkmcnt(4)                              // 000000006544: BF8C0474
	s_barrier                                                  // 000000006548: BF8A0000
	v_mfma_f32_16x16x16_f16 v[128:131], a[48:49], v[48:49], 0  // 00000000654C: D3CD0080 0A026130
	v_mul_f32_e32 v124, s49, v124                              // 000000006554: 0AF8F831
	s_nop 0                                                    // 000000006558: BF800000
	v_mfma_f32_16x16x16_f16 v[128:131], a[52:53], v[50:51], v[128:131]// 00000000655C: D3CD0080 0E026534
	ds_read_b128 a[144:147], v10                               // 000000006564: DBFE0000 9000000A
	buffer_load_dword v36, v1, s[8:11], 0 idxen                // 00000000656C: E0502000 80022401
	v_mfma_f32_16x16x16_f16 v[128:131], a[56:57], v[52:53], v[128:131]// 000000006574: D3CD0080 0E026938
	v_mfma_f32_16x16x16_f16 v[128:131], a[60:61], v[54:55], v[128:131]// 00000000657C: D3CD0080 0E026D3C
	ds_read_b128 a[148:151], v10 offset:512                    // 000000006584: DBFE0200 9400000A
	buffer_load_dword v37, v2, s[8:11], 0 idxen                // 00000000658C: E0502000 80022502
	v_mfma_f32_16x16x16_f16 v[128:131], a[64:65], v[56:57], v[128:131]// 000000006594: D3CD0080 0E027140
	v_perm_b32 v84, v33, v32, s63                              // 00000000659C: D1ED0054 00FE4121
	v_perm_b32 v85, v33, v32, s64                              // 0000000065A4: D1ED0055 01024121
	v_mfma_f32_16x16x16_f16 v[128:131], a[68:69], v[58:59], v[128:131]// 0000000065AC: D3CD0080 0E027544
	ds_read_b128 a[152:155], v10 offset:2176                   // 0000000065B4: DBFE0880 9800000A
	buffer_load_dword v38, v3, s[8:11], 0 idxen                // 0000000065BC: E0502000 80022603
	v_mfma_f32_16x16x16_f16 v[128:131], a[72:73], v[60:61], v[128:131]// 0000000065C4: D3CD0080 0E027948
	v_perm_b32 v86, v35, v34, s63                              // 0000000065CC: D1ED0056 00FE4523
	v_perm_b32 v87, v35, v34, s64                              // 0000000065D4: D1ED0057 01024523
	v_mfma_f32_16x16x16_f16 v[128:131], a[76:77], v[62:63], v[128:131]// 0000000065DC: D3CD0080 0E027D4C
	ds_read_b128 a[156:159], v10 offset:2688                   // 0000000065E4: DBFE0A80 9C00000A
	buffer_load_dword v39, v4, s[8:11], 0 idxen                // 0000000065EC: E0502000 80022704
	v_mfma_f32_16x16x16_f16 v[128:131], a[80:81], v[64:65], v[128:131]// 0000000065F4: D3CD0080 0E028150
	v_perm_b32 v88, v41, v40, s63                              // 0000000065FC: D1ED0058 00FE5129
	v_perm_b32 v89, v41, v40, s64                              // 000000006604: D1ED0059 01025129
	v_mfma_f32_16x16x16_f16 v[128:131], a[84:85], v[66:67], v[128:131]// 00000000660C: D3CD0080 0E028554
	ds_read_b128 v[92:95], v10 offset:8704                     // 000000006614: D9FE2200 5C00000A
	buffer_load_dword v44, v1, s[20:23], 0 idxen               // 00000000661C: E0502000 80052C01
	v_mfma_f32_16x16x16_f16 v[128:131], a[88:89], v[68:69], v[128:131]// 000000006624: D3CD0080 0E028958
	v_perm_b32 v90, v43, v42, s63                              // 00000000662C: D1ED005A 00FE552B
	v_perm_b32 v91, v43, v42, s64                              // 000000006634: D1ED005B 0102552B
	v_mfma_f32_16x16x16_f16 v[128:131], a[92:93], v[70:71], v[128:131]// 00000000663C: D3CD0080 0E028D5C
	ds_read_b128 v[96:99], v10 offset:9216                     // 000000006644: D9FE2400 6000000A
	buffer_load_dword v45, v2, s[20:23], 0 idxen               // 00000000664C: E0502000 80052D02
	v_mfma_f32_16x16x16_f16 v[132:135], a[50:51], v[48:49], 0  // 000000006654: D3CD0084 0A026132
	v_mov_b32_dpp v127, v124 quad_perm:[3,3,3,3] row_mask:0xf bank_mask:0xf// 00000000665C: 7EFE02FA FF00FF7C
	v_mov_b32_dpp v126, v124 quad_perm:[2,2,2,2] row_mask:0xf bank_mask:0xf// 000000006664: 7EFC02FA FF00AA7C
	v_mfma_f32_16x16x16_f16 v[132:135], a[54:55], v[50:51], v[132:135]// 00000000666C: D3CD0084 0E126536
	ds_read_b128 v[100:103], v10 offset:10880                  // 000000006674: D9FE2A80 6400000A
	buffer_load_dword v46, v3, s[20:23], 0 idxen               // 00000000667C: E0502000 80052E03
	v_mfma_f32_16x16x16_f16 v[132:135], a[58:59], v[52:53], v[132:135]// 000000006684: D3CD0084 0E12693A
	v_mov_b32_dpp v125, v124 quad_perm:[1,1,1,1] row_mask:0xf bank_mask:0xf// 00000000668C: 7EFA02FA FF00557C
	v_mov_b32_dpp v124, v124 quad_perm:[0,0,0,0] row_mask:0xf bank_mask:0xf// 000000006694: 7EF802FA FF00007C
	s_add_u32 s60, 64, s59                                     // 00000000669C: 803C3BC0
	v_mfma_f32_16x16x16_f16 v[132:135], a[62:63], v[54:55], v[132:135]// 0000000066A0: D3CD0084 0E126D3E
	ds_read_b128 v[104:107], v10 offset:11392                  // 0000000066A8: D9FE2C80 6800000A
	buffer_load_dword v47, v4, s[20:23], 0 idxen               // 0000000066B0: E0502000 80052F04
	v_mfma_f32_16x16x16_f16 v[132:135], a[66:67], v[56:57], v[132:135]// 0000000066B8: D3CD0084 0E127142
	s_cmp_lt_u32 s60, s58                                      // 0000000066C0: BF0A3A3C
	s_cselect_b32 s68, s68, 0                                  // 0000000066C4: 85448044
	s_cselect_b32 s69, s69, 0                                  // 0000000066C8: 85458045
	v_mfma_f32_16x16x16_f16 v[132:135], a[70:71], v[58:59], v[132:135]// 0000000066CC: D3CD0084 0E127546
	buffer_load_dword v9, s[24:27], 0 idxen lds                // 0000000066D4: E0512000 80060009
	v_mfma_f32_16x16x16_f16 v[132:135], a[74:75], v[60:61], v[132:135]// 0000000066DC: D3CD0084 0E12794A
	s_add_u32 s8, s68, s8                                      // 0000000066E4: 80080844
	s_addc_u32 s9, 0, s9                                       // 0000000066E8: 82090980
	v_mfma_f32_16x16x16_f16 v[132:135], a[78:79], v[62:63], v[132:135]// 0000000066EC: D3CD0084 0E127D4E
	s_add_u32 s20, s68, s20                                    // 0000000066F4: 80141444
	s_addc_u32 s21, 0, s21                                     // 0000000066F8: 82151580
	v_mfma_f32_16x16x16_f16 v[132:135], a[82:83], v[64:65], v[132:135]// 0000000066FC: D3CD0084 0E128152
	s_mov_b32 m0, s78                                          // 000000006704: BEFC004E
	v_add_u32_e32 v9, s69, v9                                  // 000000006708: 68121245
	v_mfma_f32_16x16x16_f16 v[132:135], a[86:87], v[66:67], v[132:135]// 00000000670C: D3CD0084 0E128556
	s_cmp_ge_u32 s59, s73                                      // 000000006714: BF09493B
	s_cselect_b32 s66, s67, s66                                // 000000006718: 85424243
	v_mfma_f32_16x16x16_f16 v[132:135], a[90:91], v[68:69], v[132:135]// 00000000671C: D3CD0084 0E12895A
	s_addk_i32 s59, 0x10                                       // 000000006724: B73B0010
	s_nop 0                                                    // 000000006728: BF800000
	s_cmp_lt_i32 s59, s58                                      // 00000000672C: BF043A3B
	v_mfma_f32_16x16x16_f16 v[132:135], a[94:95], v[70:71], v[132:135]// 000000006730: D3CD0084 0E128D5E
	s_cbranch_scc0 label_0CFC                                  // 000000006738: BF8402AD
	s_waitcnt lgkmcnt(4)                                       // 00000000673C: BF8CC47F
	s_barrier                                                  // 000000006740: BF8A0000
	v_mfma_f32_16x16x16_f16 v[48:51], a[144:145], a[0:1], 0    // 000000006744: D3CD0030 1A020190
	ds_write_b32 v11, v40 offset:8704                          // 00000000674C: D81A2200 0000280B
	ds_write_b32 v11, v41 offset:9760                          // 000000006754: D81A2620 0000290B
	v_mfma_f32_16x16x16_f16 v[48:51], a[146:147], a[2:3], v[48:51]// 00000000675C: D3CD0030 1CC20592
	v_mul_f32_e32 v128, s48, v128                              // 000000006764: 0B010030
	v_mul_f32_e32 v129, s48, v129                              // 000000006768: 0B030230
	v_mfma_f32_16x16x16_f16 v[48:51], a[148:149], a[4:5], v[48:51]// 00000000676C: D3CD0030 1CC20994
	ds_write_b32 v11, v42 offset:8832                          // 000000006774: D81A2280 00002A0B
	ds_write_b32 v11, v43 offset:9888                          // 00000000677C: D81A26A0 00002B0B
	v_mfma_f32_16x16x16_f16 v[48:51], a[150:151], a[6:7], v[48:51]// 000000006784: D3CD0030 1CC20D96
	v_mul_f32_e32 v130, s48, v130                              // 00000000678C: 0B050430
	v_mul_f32_e32 v131, s48, v131                              // 000000006790: 0B070630
	v_mfma_f32_16x16x16_f16 v[48:51], a[152:153], a[8:9], v[48:51]// 000000006794: D3CD0030 1CC21198
	v_mul_f32_e32 v132, s48, v132                              // 00000000679C: 0B090830
	v_mul_f32_e32 v133, s48, v133                              // 0000000067A0: 0B0B0A30
	v_mfma_f32_16x16x16_f16 v[48:51], a[154:155], a[10:11], v[48:51]// 0000000067A4: D3CD0030 1CC2159A
	v_mul_f32_e32 v134, s48, v134                              // 0000000067AC: 0B0D0C30
	v_mul_f32_e32 v135, s48, v135                              // 0000000067B0: 0B0F0E30
	v_mfma_f32_16x16x16_f16 v[48:51], a[156:157], a[12:13], v[48:51]// 0000000067B4: D3CD0030 1CC2199C
	v_cvt_pkrtz_f16_f32 v128, v128, v129                       // 0000000067BC: D2960080 00030380
	v_cvt_pkrtz_f16_f32 v129, v130, v131                       // 0000000067C4: D2960081 00030782
	v_mfma_f32_16x16x16_f16 v[48:51], a[158:159], a[14:15], v[48:51]// 0000000067CC: D3CD0030 1CC21D9E
	v_cvt_pkrtz_f16_f32 v130, v132, v133                       // 0000000067D4: D2960082 00030B84
	v_cvt_pkrtz_f16_f32 v131, v134, v135                       // 0000000067DC: D2960083 00030F86
	v_mfma_f32_16x16x16_f16 v[52:55], a[144:145], a[16:17], 0  // 0000000067E4: D3CD0034 1A022190
	ds_write_b64 v20, v[128:129] offset:24320                  // 0000000067EC: D89A5F00 00008014
	v_mfma_f32_16x16x16_f16 v[52:55], a[146:147], a[18:19], v[52:55]// 0000000067F4: D3CD0034 1CD22592
	v_mfma_f32_16x16x16_f16 v[52:55], a[148:149], a[20:21], v[52:55]// 0000000067FC: D3CD0034 1CD22994
	ds_write_b64 v20, v[130:131] offset:24864                  // 000000006804: D89A6120 00008214
	v_mfma_f32_16x16x16_f16 v[52:55], a[150:151], a[22:23], v[52:55]// 00000000680C: D3CD0034 1CD22D96
	v_mfma_f32_16x16x16_f16 v[52:55], a[152:153], a[24:25], v[52:55]// 000000006814: D3CD0034 1CD23198
	ds_read_b128 v[108:111], v12 offset:13056                  // 00000000681C: D9FE3300 6C00000C
	ds_write_b32 v11, v32                                      // 000000006824: D81A0000 0000200B
	v_mfma_f32_16x16x16_f16 v[52:55], a[154:155], a[26:27], v[52:55]// 00000000682C: D3CD0034 1CD2359A
	v_mfma_f32_16x16x16_f16 v[52:55], a[156:157], a[28:29], v[52:55]// 000000006834: D3CD0034 1CD2399C
	v_mfma_f32_16x16x16_f16 v[52:55], a[158:159], a[30:31], v[52:55]// 00000000683C: D3CD0034 1CD23D9E
	ds_read_b128 v[112:115], v12 offset:13568                  // 000000006844: D9FE3500 7000000C
	ds_write_b32 v11, v33 offset:1056                          // 00000000684C: D81A0420 0000210B
	v_mfma_f32_16x16x16_f16 v[56:59], a[144:145], a[32:33], 0  // 000000006854: D3CD0038 1A024190
	v_mfma_f32_16x16x16_f16 v[56:59], a[146:147], a[34:35], v[56:59]// 00000000685C: D3CD0038 1CE24592
	v_mfma_f32_16x16x16_f16 v[56:59], a[148:149], a[36:37], v[56:59]// 000000006864: D3CD0038 1CE24994
	ds_read_b128 v[116:119], v12 offset:15232                  // 00000000686C: D9FE3B80 7400000C
	ds_write_b32 v11, v34 offset:128                           // 000000006874: D81A0080 0000220B
	v_mfma_f32_16x16x16_f16 v[56:59], a[150:151], a[38:39], v[56:59]// 00000000687C: D3CD0038 1CE24D96
	v_mfma_f32_16x16x16_f16 v[56:59], a[152:153], a[40:41], v[56:59]// 000000006884: D3CD0038 1CE25198
	v_mfma_f32_16x16x16_f16 v[56:59], a[154:155], a[42:43], v[56:59]// 00000000688C: D3CD0038 1CE2559A
	ds_read_b128 v[120:123], v12 offset:15744                  // 000000006894: D9FE3D80 7800000C
	ds_write_b32 v11, v35 offset:1184                          // 00000000689C: D81A04A0 0000230B
	v_mfma_f32_16x16x16_f16 v[56:59], a[156:157], a[44:45], v[56:59]// 0000000068A4: D3CD0038 1CE2599C
	v_mfma_f32_16x16x16_f16 v[56:59], a[158:159], a[46:47], v[56:59]// 0000000068AC: D3CD0038 1CE25D9E
	s_cmp_lt_i32 s74, 12                                       // 0000000068B4: BF048C4A
	s_cbranch_scc0 label_0B24                                  // 0000000068B8: BF840075
	s_mov_b32 s60, 0xffe0fffe                                  // 0000000068BC: BEBC00FF FFE0FFFE
	s_mov_b32 s61, 0xe000fe00                                  // 0000000068C4: BEBD00FF E000FE00
	s_nop 0                                                    // 0000000068CC: BF800000
	s_add_u32 s62, 0, s47                                      // 0000000068D0: 803E2F80
	s_cmp_lt_i32 s74, s62                                      // 0000000068D4: BF043E4A
	s_cbranch_scc1 label_0ADF                                  // 0000000068D8: BF850028
	s_cmp_eq_i32 s74, s62                                      // 0000000068DC: BF003E4A
	s_cbranch_scc1 label_0AC4                                  // 0000000068E0: BF85000B
	s_add_u32 s62, 4, s47                                      // 0000000068E4: 803E2F84
	s_cmp_lt_i32 s74, s62                                      // 0000000068E8: BF043E4A
	s_cbranch_scc1 label_0AFF                                  // 0000000068EC: BF850043
	s_cmp_eq_i32 s74, s62                                      // 0000000068F0: BF003E4A
	s_cbranch_scc1 label_0AE4                                  // 0000000068F4: BF850026
	s_add_u32 s62, 8, s47                                      // 0000000068F8: 803E2F88
	s_cmp_lt_i32 s74, s62                                      // 0000000068FC: BF043E4A
	s_cbranch_scc1 label_0B1F                                  // 000000006900: BF85005E
	s_cmp_eq_i32 s74, s62                                      // 000000006904: BF003E4A
	s_cbranch_scc1 label_0B04                                  // 000000006908: BF850041
	s_branch label_0B24                                        // 00000000690C: BF820060

0000000000006910 <label_0AC4>:
	v_cndmask_b32_e64 v48, v48, v151, s[60:61]                 // 000000006910: D1000030 00F32F30
	s_lshl_b32 s60, s60, 1                                     // 000000006918: 8E3C813C
	s_lshl_b32 s61, s61, 1                                     // 00000000691C: 8E3D813D
	s_and_b32 s60, 0xfffeffff, s60                             // 000000006920: 863C3CFF FFFEFFFF
	s_and_b32 s61, 0xfffeffff, s61                             // 000000006928: 863D3DFF FFFEFFFF
	v_cndmask_b32_e64 v49, v49, v151, s[60:61]                 // 000000006930: D1000031 00F32F31
	s_lshl_b32 s60, s60, 1                                     // 000000006938: 8E3C813C
	s_lshl_b32 s61, s61, 1                                     // 00000000693C: 8E3D813D
	s_and_b32 s60, 0xfffeffff, s60                             // 000000006940: 863C3CFF FFFEFFFF
	s_and_b32 s61, 0xfffeffff, s61                             // 000000006948: 863D3DFF FFFEFFFF
	v_cndmask_b32_e64 v50, v50, v151, s[60:61]                 // 000000006950: D1000032 00F32F32
	s_lshl_b32 s60, s60, 1                                     // 000000006958: 8E3C813C
	s_lshl_b32 s61, s61, 1                                     // 00000000695C: 8E3D813D
	s_and_b32 s60, 0xfffeffff, s60                             // 000000006960: 863C3CFF FFFEFFFF
	s_and_b32 s61, 0xfffeffff, s61                             // 000000006968: 863D3DFF FFFEFFFF
	v_cndmask_b32_e64 v51, v51, v151, s[60:61]                 // 000000006970: D1000033 00F32F33
	s_branch label_0AFF                                        // 000000006978: BF820020

000000000000697c <label_0ADF>:
	v_mov_b32_e32 v48, v151                                    // 00000000697C: 7E600397
	v_mov_b32_e32 v49, v151                                    // 000000006980: 7E620397
	v_mov_b32_e32 v50, v151                                    // 000000006984: 7E640397
	v_mov_b32_e32 v51, v151                                    // 000000006988: 7E660397
	s_branch label_0AFF                                        // 00000000698C: BF82001B

0000000000006990 <label_0AE4>:
	v_cndmask_b32_e64 v52, v52, v151, s[60:61]                 // 000000006990: D1000034 00F32F34
	s_lshl_b32 s60, s60, 1                                     // 000000006998: 8E3C813C
	s_lshl_b32 s61, s61, 1                                     // 00000000699C: 8E3D813D
	s_and_b32 s60, 0xfffeffff, s60                             // 0000000069A0: 863C3CFF FFFEFFFF
	s_and_b32 s61, 0xfffeffff, s61                             // 0000000069A8: 863D3DFF FFFEFFFF
	v_cndmask_b32_e64 v53, v53, v151, s[60:61]                 // 0000000069B0: D1000035 00F32F35
	s_lshl_b32 s60, s60, 1                                     // 0000000069B8: 8E3C813C
	s_lshl_b32 s61, s61, 1                                     // 0000000069BC: 8E3D813D
	s_and_b32 s60, 0xfffeffff, s60                             // 0000000069C0: 863C3CFF FFFEFFFF
	s_and_b32 s61, 0xfffeffff, s61                             // 0000000069C8: 863D3DFF FFFEFFFF
	v_cndmask_b32_e64 v54, v54, v151, s[60:61]                 // 0000000069D0: D1000036 00F32F36
	s_lshl_b32 s60, s60, 1                                     // 0000000069D8: 8E3C813C
	s_lshl_b32 s61, s61, 1                                     // 0000000069DC: 8E3D813D
	s_and_b32 s60, 0xfffeffff, s60                             // 0000000069E0: 863C3CFF FFFEFFFF
	s_and_b32 s61, 0xfffeffff, s61                             // 0000000069E8: 863D3DFF FFFEFFFF
	v_cndmask_b32_e64 v55, v55, v151, s[60:61]                 // 0000000069F0: D1000037 00F32F37
	s_branch label_0B1F                                        // 0000000069F8: BF820020

00000000000069fc <label_0AFF>:
	v_mov_b32_e32 v52, v151                                    // 0000000069FC: 7E680397
	v_mov_b32_e32 v53, v151                                    // 000000006A00: 7E6A0397
	v_mov_b32_e32 v54, v151                                    // 000000006A04: 7E6C0397
	v_mov_b32_e32 v55, v151                                    // 000000006A08: 7E6E0397
	s_branch label_0B1F                                        // 000000006A0C: BF82001B

0000000000006a10 <label_0B04>:
	v_cndmask_b32_e64 v56, v56, v151, s[60:61]                 // 000000006A10: D1000038 00F32F38
	s_lshl_b32 s60, s60, 1                                     // 000000006A18: 8E3C813C
	s_lshl_b32 s61, s61, 1                                     // 000000006A1C: 8E3D813D
	s_and_b32 s60, 0xfffeffff, s60                             // 000000006A20: 863C3CFF FFFEFFFF
	s_and_b32 s61, 0xfffeffff, s61                             // 000000006A28: 863D3DFF FFFEFFFF
	v_cndmask_b32_e64 v57, v57, v151, s[60:61]                 // 000000006A30: D1000039 00F32F39
	s_lshl_b32 s60, s60, 1                                     // 000000006A38: 8E3C813C
	s_lshl_b32 s61, s61, 1                                     // 000000006A3C: 8E3D813D
	s_and_b32 s60, 0xfffeffff, s60                             // 000000006A40: 863C3CFF FFFEFFFF
	s_and_b32 s61, 0xfffeffff, s61                             // 000000006A48: 863D3DFF FFFEFFFF
	v_cndmask_b32_e64 v58, v58, v151, s[60:61]                 // 000000006A50: D100003A 00F32F3A
	s_lshl_b32 s60, s60, 1                                     // 000000006A58: 8E3C813C
	s_lshl_b32 s61, s61, 1                                     // 000000006A5C: 8E3D813D
	s_and_b32 s60, 0xfffeffff, s60                             // 000000006A60: 863C3CFF FFFEFFFF
	s_and_b32 s61, 0xfffeffff, s61                             // 000000006A68: 863D3DFF FFFEFFFF
	v_cndmask_b32_e64 v59, v59, v151, s[60:61]                 // 000000006A70: D100003B 00F32F3B
	s_branch label_0B24                                        // 000000006A78: BF820005

0000000000006a7c <label_0B1F>:
	v_mov_b32_e32 v56, v151                                    // 000000006A7C: 7E700397
	v_mov_b32_e32 v57, v151                                    // 000000006A80: 7E720397
	v_mov_b32_e32 v58, v151                                    // 000000006A84: 7E740397
	v_mov_b32_e32 v59, v151                                    // 000000006A88: 7E760397
	s_branch label_0B24                                        // 000000006A8C: BF820000

0000000000006a90 <label_0B24>:
	s_addk_i32 s74, 0x1                                        // 000000006A90: B74A0001
	s_waitcnt lgkmcnt(8)                                       // 000000006A94: BF8CC87F
	s_barrier                                                  // 000000006A98: BF8A0000
	v_mfma_f32_16x16x16_f16 v[72:75], v[92:93], a[96:97], 0    // 000000006A9C: D3CD0048 1202C15C
	ds_read_b128 a[144:147], v12 offset:4352                   // 000000006AA4: DBFE1100 9000000C
	ds_read_b128 a[148:151], v12 offset:4864                   // 000000006AAC: DBFE1300 9400000C
	v_mfma_f32_16x16x16_f16 v[72:75], v[94:95], a[98:99], v[72:75]// 000000006AB4: D3CD0048 1522C55E
	v_fma_f32 v48, v48, s57, -v124                             // 000000006ABC: D1CB0030 85F07330
	v_fma_f32 v49, v49, s57, -v125                             // 000000006AC4: D1CB0031 85F47331
	v_fma_f32 v50, v50, s57, -v126                             // 000000006ACC: D1CB0032 85F87332
	v_mfma_f32_16x16x16_f16 v[72:75], v[96:97], a[100:101], v[72:75]// 000000006AD4: D3CD0048 1522C960
	v_fma_f32 v51, v51, s57, -v127                             // 000000006ADC: D1CB0033 85FC7333
	v_fma_f32 v52, v52, s57, -v124                             // 000000006AE4: D1CB0034 85F07334
	v_fma_f32 v53, v53, s57, -v125                             // 000000006AEC: D1CB0035 85F47335
	v_mfma_f32_16x16x16_f16 v[72:75], v[98:99], a[102:103], v[72:75]// 000000006AF4: D3CD0048 1522CD62
	v_fma_f32 v54, v54, s57, -v126                             // 000000006AFC: D1CB0036 85F87336
	v_fma_f32 v55, v55, s57, -v127                             // 000000006B04: D1CB0037 85FC7337
	v_fma_f32 v56, v56, s57, -v124                             // 000000006B0C: D1CB0038 85F07338
	v_mfma_f32_16x16x16_f16 v[72:75], v[100:101], a[104:105], v[72:75]// 000000006B14: D3CD0048 1522D164
	ds_read_b128 a[152:155], v12 offset:6528                   // 000000006B1C: DBFE1980 9800000C
	ds_read_b128 a[156:159], v12 offset:7040                   // 000000006B24: DBFE1B80 9C00000C
	v_mfma_f32_16x16x16_f16 v[72:75], v[102:103], a[106:107], v[72:75]// 000000006B2C: D3CD0048 1522D566
	v_fma_f32 v57, v57, s57, -v125                             // 000000006B34: D1CB0039 85F47339
	v_fma_f32 v58, v58, s57, -v126                             // 000000006B3C: D1CB003A 85F8733A
	v_fma_f32 v59, v59, s57, -v127                             // 000000006B44: D1CB003B 85FC733B
	v_mfma_f32_16x16x16_f16 v[72:75], v[104:105], a[108:109], v[72:75]// 000000006B4C: D3CD0048 1522D968
	v_exp_f32_e32 v48, v48                                     // 000000006B54: 7E604130
	v_mfma_f32_16x16x16_f16 v[72:75], v[106:107], a[110:111], v[72:75]// 000000006B58: D3CD0048 1522DD6A
	v_exp_f32_e32 v49, v49                                     // 000000006B60: 7E624131
	v_mfma_f32_16x16x16_f16 v[76:79], v[92:93], a[112:113], 0  // 000000006B64: D3CD004C 1202E15C
	ds_read_b32 v136, v19 offset:24320                         // 000000006B6C: D86C5F00 88000013
	ds_read_b32 v137, v19 offset:24336                         // 000000006B74: D86C5F10 89000013
	v_mfma_f32_16x16x16_f16 v[76:79], v[94:95], a[114:115], v[76:79]// 000000006B7C: D3CD004C 1532E55E
	v_exp_f32_e32 v50, v50                                     // 000000006B84: 7E644132
	v_mfma_f32_16x16x16_f16 v[76:79], v[96:97], a[116:117], v[76:79]// 000000006B88: D3CD004C 1532E960
	ds_read_b32 v138, v19 offset:26496                         // 000000006B90: D86C6780 8A000013
	ds_read_b32 v139, v19 offset:26512                         // 000000006B98: D86C6790 8B000013
	v_mfma_f32_16x16x16_f16 v[76:79], v[98:99], a[118:119], v[76:79]// 000000006BA0: D3CD004C 1532ED62
	v_exp_f32_e32 v51, v51                                     // 000000006BA8: 7E664133
	v_mfma_f32_16x16x16_f16 v[76:79], v[100:101], a[120:121], v[76:79]// 000000006BAC: D3CD004C 1532F164
	v_exp_f32_e32 v52, v52                                     // 000000006BB4: 7E684134
	v_mfma_f32_16x16x16_f16 v[76:79], v[102:103], a[122:123], v[76:79]// 000000006BB8: D3CD004C 1532F566
	v_exp_f32_e32 v53, v53                                     // 000000006BC0: 7E6A4135
	v_mfma_f32_16x16x16_f16 v[76:79], v[104:105], a[124:125], v[76:79]// 000000006BC4: D3CD004C 1532F968
	v_exp_f32_e32 v54, v54                                     // 000000006BCC: 7E6C4136
	v_mfma_f32_16x16x16_f16 v[76:79], v[106:107], a[126:127], v[76:79]// 000000006BD0: D3CD004C 1532FD6A
	v_exp_f32_e32 v55, v55                                     // 000000006BD8: 7E6E4137
	v_mfma_f32_16x16x16_f16 v[80:83], v[92:93], a[128:129], 0  // 000000006BDC: D3CD0050 1203015C
	v_exp_f32_e32 v56, v56                                     // 000000006BE4: 7E704138
	v_mfma_f32_16x16x16_f16 v[80:83], v[94:95], a[130:131], v[80:83]// 000000006BE8: D3CD0050 1543055E
	v_exp_f32_e32 v57, v57                                     // 000000006BF0: 7E724139
	v_mfma_f32_16x16x16_f16 v[80:83], v[96:97], a[132:133], v[80:83]// 000000006BF4: D3CD0050 15430960
	v_exp_f32_e32 v58, v58                                     // 000000006BFC: 7E74413A
	v_mfma_f32_16x16x16_f16 v[80:83], v[98:99], a[134:135], v[80:83]// 000000006C00: D3CD0050 15430D62
	v_exp_f32_e32 v59, v59                                     // 000000006C08: 7E76413B
	v_mfma_f32_16x16x16_f16 v[80:83], v[100:101], a[136:137], v[80:83]// 000000006C0C: D3CD0050 15431164
	v_cvt_pkrtz_f16_f32 v144, v48, v49                         // 000000006C14: D2960090 00026330
	v_cvt_pkrtz_f16_f32 v145, v50, v51                         // 000000006C1C: D2960091 00026732
	v_cvt_pkrtz_f16_f32 v146, v52, v53                         // 000000006C24: D2960092 00026B34
	v_mfma_f32_16x16x16_f16 v[80:83], v[102:103], a[138:139], v[80:83]// 000000006C2C: D3CD0050 15431566
	v_cvt_pkrtz_f16_f32 v147, v54, v55                         // 000000006C34: D2960093 00026F36
	v_cvt_pkrtz_f16_f32 v148, v56, v57                         // 000000006C3C: D2960094 00027338
	v_cvt_pkrtz_f16_f32 v149, v58, v59                         // 000000006C44: D2960095 0002773A
	v_mfma_f32_16x16x16_f16 v[80:83], v[104:105], a[140:141], v[80:83]// 000000006C4C: D3CD0050 15431968
	s_add_u32 s32, s66, s32                                    // 000000006C54: 80202042
	s_addc_u32 s33, 0, s33                                     // 000000006C58: 82212180
	v_mfma_f32_16x16x16_f16 v[80:83], v[106:107], a[142:143], v[80:83]// 000000006C5C: D3CD0050 15431D6A
	s_waitcnt lgkmcnt(0)                                       // 000000006C64: BF8CC07F
	s_barrier                                                  // 000000006C68: BF8A0000
	v_mfma_f32_16x16x16_f16 v[152:155], v[108:109], v[144:145], v[152:155]// 000000006C6C: D3CD0098 0663216C
	v_subrev_f32_dpp v72, v150, v72 quad_perm:[0,0,0,0] row_mask:0xf bank_mask:0xf// 000000006C74: 069090FA FF000096
	v_subrev_f32_dpp v73, v150, v73 quad_perm:[1,1,1,1] row_mask:0xf bank_mask:0xf// 000000006C7C: 069292FA FF005596
	v_subrev_f32_dpp v74, v150, v74 quad_perm:[2,2,2,2] row_mask:0xf bank_mask:0xf// 000000006C84: 069494FA FF00AA96
	v_mfma_f32_16x16x16_f16 v[156:159], v[110:111], v[144:145], v[156:159]// 000000006C8C: D3CD009C 0673216E
	v_subrev_f32_dpp v75, v150, v75 quad_perm:[3,3,3,3] row_mask:0xf bank_mask:0xf// 000000006C94: 069696FA FF00FF96
	v_subrev_f32_dpp v76, v150, v76 quad_perm:[0,0,0,0] row_mask:0xf bank_mask:0xf// 000000006C9C: 069898FA FF000096
	v_subrev_f32_dpp v77, v150, v77 quad_perm:[1,1,1,1] row_mask:0xf bank_mask:0xf// 000000006CA4: 069A9AFA FF005596
	v_mfma_f32_16x16x16_f16 v[160:163], v[112:113], v[144:145], v[160:163]// 000000006CAC: D3CD00A0 06832170
	v_mul_f32_e32 v72, v48, v72                                // 000000006CB4: 0A909130
	v_mul_f32_e32 v73, v49, v73                                // 000000006CB8: 0A929331
	v_mul_f32_e32 v74, v50, v74                                // 000000006CBC: 0A949532
	v_mfma_f32_16x16x16_f16 v[164:167], v[114:115], v[144:145], v[164:167]// 000000006CC0: D3CD00A4 06932172
	v_mul_f32_e32 v75, v51, v75                                // 000000006CC8: 0A969733
	v_mul_f32_e32 v76, v52, v76                                // 000000006CCC: 0A989934
	v_mul_f32_e32 v77, v53, v77                                // 000000006CD0: 0A9A9B35
	v_mfma_f32_16x16x16_f16 v[168:171], v[116:117], v[144:145], v[168:171]// 000000006CD4: D3CD00A8 06A32174
	v_cvt_pkrtz_f16_f32 v72, v72, v73                          // 000000006CDC: D2960048 00029348
	v_cvt_pkrtz_f16_f32 v73, v74, v75                          // 000000006CE4: D2960049 0002974A
	v_cvt_pkrtz_f16_f32 v74, v76, v77                          // 000000006CEC: D296004A 00029B4C
	v_mfma_f32_16x16x16_f16 v[172:175], v[118:119], v[144:145], v[172:175]// 000000006CF4: D3CD00AC 06B32176
	v_mov_b32_dpp v16, v72 quad_perm:[1,0,3,2] row_mask:0xf bank_mask:0xf// 000000006CFC: 7E2002FA FF00B148
	v_perm_b32 v48, v16, v72, v15                              // 000000006D04: D1ED0030 043E9110
	v_mov_b32_dpp v16, v73 quad_perm:[1,0,3,2] row_mask:0xf bank_mask:0xf// 000000006D0C: 7E2002FA FF00B149
	v_mfma_f32_16x16x16_f16 v[176:179], v[120:121], v[144:145], v[176:179]// 000000006D14: D3CD00B0 06C32178
	v_perm_b32 v49, v16, v73, v15                              // 000000006D1C: D1ED0031 043E9310
	v_mov_b32_dpp v16, v74 quad_perm:[1,0,3,2] row_mask:0xf bank_mask:0xf// 000000006D24: 7E2002FA FF00B14A
	v_perm_b32 v50, v16, v74, v15                              // 000000006D2C: D1ED0032 043E9510
	v_mfma_f32_16x16x16_f16 v[180:183], v[122:123], v[144:145], v[180:183]// 000000006D34: D3CD00B4 06D3217A
	ds_write_b32 v18, v48 offset:17408                         // 000000006D3C: D81A4400 00003012
	v_mfma_f32_16x16x16_f16 v[184:187], v[108:109], v[146:147], v[184:187]// 000000006D44: D3CD00B8 06E3256C
	v_subrev_f32_dpp v78, v150, v78 quad_perm:[2,2,2,2] row_mask:0xf bank_mask:0xf// 000000006D4C: 069C9CFA FF00AA96
	v_subrev_f32_dpp v79, v150, v79 quad_perm:[3,3,3,3] row_mask:0xf bank_mask:0xf// 000000006D54: 069E9EFA FF00FF96
	v_subrev_f32_dpp v80, v150, v80 quad_perm:[0,0,0,0] row_mask:0xf bank_mask:0xf// 000000006D5C: 06A0A0FA FF000096
	v_mfma_f32_16x16x16_f16 v[188:191], v[110:111], v[146:147], v[188:191]// 000000006D64: D3CD00BC 06F3256E
	ds_write_b32 v18, v49 offset:17952                         // 000000006D6C: D81A4620 00003112
	v_mfma_f32_16x16x16_f16 v[192:195], v[112:113], v[146:147], v[192:195]// 000000006D74: D3CD00C0 07032570
	v_subrev_f32_dpp v81, v150, v81 quad_perm:[1,1,1,1] row_mask:0xf bank_mask:0xf// 000000006D7C: 06A2A2FA FF005596
	v_subrev_f32_dpp v82, v150, v82 quad_perm:[2,2,2,2] row_mask:0xf bank_mask:0xf// 000000006D84: 06A4A4FA FF00AA96
	v_subrev_f32_dpp v83, v150, v83 quad_perm:[3,3,3,3] row_mask:0xf bank_mask:0xf// 000000006D8C: 06A6A6FA FF00FF96
	v_mfma_f32_16x16x16_f16 v[196:199], v[114:115], v[146:147], v[196:199]// 000000006D94: D3CD00C4 07132572
	ds_write_b32 v18, v50 offset:19712                         // 000000006D9C: D81A4D00 00003212
	v_mfma_f32_16x16x16_f16 v[200:203], v[116:117], v[146:147], v[200:203]// 000000006DA4: D3CD00C8 07232574
	v_mul_f32_e32 v78, v54, v78                                // 000000006DAC: 0A9C9D36
	v_mul_f32_e32 v79, v55, v79                                // 000000006DB0: 0A9E9F37
	v_mul_f32_e32 v80, v56, v80                                // 000000006DB4: 0AA0A138
	v_mfma_f32_16x16x16_f16 v[204:207], v[118:119], v[146:147], v[204:207]// 000000006DB8: D3CD00CC 07332576
	v_mul_f32_e32 v81, v57, v81                                // 000000006DC0: 0AA2A339
	v_mul_f32_e32 v82, v58, v82                                // 000000006DC4: 0AA4A53A
	v_mul_f32_e32 v83, v59, v83                                // 000000006DC8: 0AA6A73B
	v_mfma_f32_16x16x16_f16 v[208:211], v[120:121], v[146:147], v[208:211]// 000000006DCC: D3CD00D0 07432578
	v_cvt_pkrtz_f16_f32 v75, v78, v79                          // 000000006DD4: D296004B 00029F4E
	v_cvt_pkrtz_f16_f32 v76, v80, v81                          // 000000006DDC: D296004C 0002A350
	v_cvt_pkrtz_f16_f32 v77, v82, v83                          // 000000006DE4: D296004D 0002A752
	v_mfma_f32_16x16x16_f16 v[212:215], v[122:123], v[146:147], v[212:215]// 000000006DEC: D3CD00D4 0753257A
	v_mov_b32_dpp v16, v75 quad_perm:[1,0,3,2] row_mask:0xf bank_mask:0xf// 000000006DF4: 7E2002FA FF00B14B
	v_perm_b32 v51, v16, v75, v15                              // 000000006DFC: D1ED0033 043E9710
	v_mov_b32_dpp v16, v76 quad_perm:[1,0,3,2] row_mask:0xf bank_mask:0xf// 000000006E04: 7E2002FA FF00B14C
	v_mfma_f32_16x16x16_f16 v[216:219], v[108:109], v[148:149], v[216:219]// 000000006E0C: D3CD00D8 0763296C
	v_perm_b32 v52, v16, v76, v15                              // 000000006E14: D1ED0034 043E9910
	v_mov_b32_dpp v16, v77 quad_perm:[1,0,3,2] row_mask:0xf bank_mask:0xf// 000000006E1C: 7E2002FA FF00B14D
	v_perm_b32 v53, v16, v77, v15                              // 000000006E24: D1ED0035 043E9B10
	v_mfma_f32_16x16x16_f16 v[220:223], v[110:111], v[148:149], v[220:223]// 000000006E2C: D3CD00DC 0773296E
	ds_write_b32 v18, v51 offset:20256                         // 000000006E34: D81A4F20 00003312
	v_mfma_f32_16x16x16_f16 v[224:227], v[112:113], v[148:149], v[224:227]// 000000006E3C: D3CD00E0 07832970
	v_mfma_f32_16x16x16_f16 v[228:231], v[114:115], v[148:149], v[228:231]// 000000006E44: D3CD00E4 07932972
	ds_write_b32 v18, v52 offset:22016                         // 000000006E4C: D81A5600 00003412
	ds_write_b32 v18, v53 offset:22560                         // 000000006E54: D81A5820 00003512
	v_mfma_f32_16x16x16_f16 v[232:235], v[116:117], v[148:149], v[232:235]// 000000006E5C: D3CD00E8 07A32974
	v_mfma_f32_16x16x16_f16 v[236:239], v[118:119], v[148:149], v[236:239]// 000000006E64: D3CD00EC 07B32976
	ds_write_b32 v13, v84 offset:4352                          // 000000006E6C: D81A1100 0000540D
	ds_write_b32 v13, v85 offset:5408                          // 000000006E74: D81A1520 0000550D
	v_mfma_f32_16x16x16_f16 v[240:243], v[120:121], v[148:149], v[240:243]// 000000006E7C: D3CD00F0 07C32978
	s_nop 0                                                    // 000000006E84: BF800000
	s_nop 0                                                    // 000000006E88: BF800000
	s_nop 0                                                    // 000000006E8C: BF800000
	v_mfma_f32_16x16x16_f16 v[244:247], v[122:123], v[148:149], v[244:247]// 000000006E90: D3CD00F4 07D3297A
	ds_write_b32 v13, v86 offset:4480                          // 000000006E98: D81A1180 0000560D
	ds_write_b32 v13, v87 offset:5536                          // 000000006EA0: D81A15A0 0000570D
	s_barrier                                                  // 000000006EA8: BF8A0000
	v_mfma_f32_16x16x16_f16 a[160:163], a[144:145], v[72:73], a[160:163]// 000000006EAC: D3CD80A0 0E829190
	buffer_atomic_pk_add_f16 v136, v7, s[32:35], 0 idxen       // 000000006EB4: E1382000 80088807
	v_mfma_f32_16x16x16_f16 a[164:167], a[146:147], v[72:73], a[164:167]// 000000006EBC: D3CD80A4 0E929192
	ds_read_b32 v124, v21 offset:50688                         // 000000006EC4: D86CC600 7C000015
	ds_read_b32 v150, v21 offset:50944                         // 000000006ECC: D86CC700 96000015
	v_mfma_f32_16x16x16_f16 a[168:171], a[148:149], v[72:73], a[168:171]// 000000006ED4: D3CD80A8 0EA29194
	s_waitcnt lgkmcnt(6)                                       // 000000006EDC: BF8CC67F
	s_barrier                                                  // 000000006EE0: BF8A0000
	v_mfma_f32_16x16x16_f16 a[172:175], a[150:151], v[72:73], a[172:175]// 000000006EE4: D3CD80AC 0EB29196
	ds_read_b128 v[48:51], v17 offset:17408                    // 000000006EEC: D9FE4400 30000011
	v_mfma_f32_16x16x16_f16 a[176:179], a[152:153], v[72:73], a[176:179]// 000000006EF4: D3CD80B0 0EC29198
	v_mfma_f32_16x16x16_f16 a[180:183], a[154:155], v[72:73], a[180:183]// 000000006EFC: D3CD80B4 0ED2919A
	ds_read_b128 v[52:55], v17 offset:18560                    // 000000006F04: D9FE4880 34000011
	v_mfma_f32_16x16x16_f16 a[184:187], a[156:157], v[72:73], a[184:187]// 000000006F0C: D3CD80B8 0EE2919C
	buffer_atomic_pk_add_f16 v137, v8, s[32:35], 0 idxen       // 000000006F14: E1382000 80088908
	v_mfma_f32_16x16x16_f16 a[188:191], a[158:159], v[72:73], a[188:191]// 000000006F1C: D3CD80BC 0EF2919E
	ds_read_b128 v[56:59], v17 offset:19712                    // 000000006F24: D9FE4D00 38000011
	v_mfma_f32_16x16x16_f16 a[192:195], a[144:145], v[74:75], a[192:195]// 000000006F2C: D3CD80C0 0F029590
	v_mfma_f32_16x16x16_f16 a[196:199], a[146:147], v[74:75], a[196:199]// 000000006F34: D3CD80C4 0F129592
	ds_read_b128 v[60:63], v17 offset:20864                    // 000000006F3C: D9FE5180 3C000011
	v_mfma_f32_16x16x16_f16 a[200:203], a[148:149], v[74:75], a[200:203]// 000000006F44: D3CD80C8 0F229594
	v_mfma_f32_16x16x16_f16 a[204:207], a[150:151], v[74:75], a[204:207]// 000000006F4C: D3CD80CC 0F329596
	ds_read_b128 v[64:67], v17 offset:22016                    // 000000006F54: D9FE5600 40000011
	v_mfma_f32_16x16x16_f16 a[208:211], a[152:153], v[74:75], a[208:211]// 000000006F5C: D3CD80D0 0F429598
	buffer_atomic_pk_add_f16 v138, v7, s[32:35], 0 idxen offset:128// 000000006F64: E1382080 80088A07
	v_mfma_f32_16x16x16_f16 a[212:215], a[154:155], v[74:75], a[212:215]// 000000006F6C: D3CD80D4 0F52959A
	ds_read_b128 v[68:71], v17 offset:23168                    // 000000006F74: D9FE5A80 44000011
	v_mfma_f32_16x16x16_f16 a[216:219], a[156:157], v[74:75], a[216:219]// 000000006F7C: D3CD80D8 0F62959C
	v_mfma_f32_16x16x16_f16 a[220:223], a[158:159], v[74:75], a[220:223]// 000000006F84: D3CD80DC 0F72959E
	ds_write_b32 v13, v88 offset:13056                         // 000000006F8C: D81A3300 0000580D
	v_mfma_f32_16x16x16_f16 a[224:227], a[144:145], v[76:77], a[224:227]// 000000006F94: D3CD80E0 0F829990
	v_mfma_f32_16x16x16_f16 a[228:231], a[146:147], v[76:77], a[228:231]// 000000006F9C: D3CD80E4 0F929992
	ds_write_b32 v13, v89 offset:14112                         // 000000006FA4: D81A3720 0000590D
	v_mfma_f32_16x16x16_f16 a[232:235], a[148:149], v[76:77], a[232:235]// 000000006FAC: D3CD80E8 0FA29994
	buffer_atomic_pk_add_f16 v139, v8, s[32:35], 0 idxen offset:128// 000000006FB4: E1382080 80088B08
	v_mfma_f32_16x16x16_f16 a[236:239], a[150:151], v[76:77], a[236:239]// 000000006FBC: D3CD80EC 0FB29996
	ds_write_b32 v13, v90 offset:13184                         // 000000006FC4: D81A3380 00005A0D
	v_mfma_f32_16x16x16_f16 a[240:243], a[152:153], v[76:77], a[240:243]// 000000006FCC: D3CD80F0 0FC29998
	v_mfma_f32_16x16x16_f16 a[244:247], a[154:155], v[76:77], a[244:247]// 000000006FD4: D3CD80F4 0FD2999A
	ds_write_b32 v13, v91 offset:14240                         // 000000006FDC: D81A37A0 00005B0D
	v_mfma_f32_16x16x16_f16 a[248:251], a[156:157], v[76:77], a[248:251]// 000000006FE4: D3CD80F8 0FE2999C
	v_mfma_f32_16x16x16_f16 a[252:255], a[158:159], v[76:77], a[252:255]// 000000006FEC: D3CD80FC 0FF2999E
	s_waitcnt vmcnt(4) lgkmcnt(4)                              // 000000006FF4: BF8C0474
	s_barrier                                                  // 000000006FF8: BF8A0000
	v_mfma_f32_16x16x16_f16 v[128:131], a[48:49], v[48:49], 0  // 000000006FFC: D3CD0080 0A026130
	v_mul_f32_e32 v124, s49, v124                              // 000000007004: 0AF8F831
	s_nop 0                                                    // 000000007008: BF800000
	v_mfma_f32_16x16x16_f16 v[128:131], a[52:53], v[50:51], v[128:131]// 00000000700C: D3CD0080 0E026534
	ds_read_b128 a[144:147], v10                               // 000000007014: DBFE0000 9000000A
	buffer_load_dword v32, v1, s[8:11], 0 idxen                // 00000000701C: E0502000 80022001
	v_mfma_f32_16x16x16_f16 v[128:131], a[56:57], v[52:53], v[128:131]// 000000007024: D3CD0080 0E026938
	v_mfma_f32_16x16x16_f16 v[128:131], a[60:61], v[54:55], v[128:131]// 00000000702C: D3CD0080 0E026D3C
	ds_read_b128 a[148:151], v10 offset:512                    // 000000007034: DBFE0200 9400000A
	buffer_load_dword v33, v2, s[8:11], 0 idxen                // 00000000703C: E0502000 80022102
	v_mfma_f32_16x16x16_f16 v[128:131], a[64:65], v[56:57], v[128:131]// 000000007044: D3CD0080 0E027140
	v_perm_b32 v84, v37, v36, s63                              // 00000000704C: D1ED0054 00FE4925
	v_perm_b32 v85, v37, v36, s64                              // 000000007054: D1ED0055 01024925
	v_mfma_f32_16x16x16_f16 v[128:131], a[68:69], v[58:59], v[128:131]// 00000000705C: D3CD0080 0E027544
	ds_read_b128 a[152:155], v10 offset:2176                   // 000000007064: DBFE0880 9800000A
	buffer_load_dword v34, v3, s[8:11], 0 idxen                // 00000000706C: E0502000 80022203
	v_mfma_f32_16x16x16_f16 v[128:131], a[72:73], v[60:61], v[128:131]// 000000007074: D3CD0080 0E027948
	v_perm_b32 v86, v39, v38, s63                              // 00000000707C: D1ED0056 00FE4D27
	v_perm_b32 v87, v39, v38, s64                              // 000000007084: D1ED0057 01024D27
	v_mfma_f32_16x16x16_f16 v[128:131], a[76:77], v[62:63], v[128:131]// 00000000708C: D3CD0080 0E027D4C
	ds_read_b128 a[156:159], v10 offset:2688                   // 000000007094: DBFE0A80 9C00000A
	buffer_load_dword v35, v4, s[8:11], 0 idxen                // 00000000709C: E0502000 80022304
	v_mfma_f32_16x16x16_f16 v[128:131], a[80:81], v[64:65], v[128:131]// 0000000070A4: D3CD0080 0E028150
	v_perm_b32 v88, v45, v44, s63                              // 0000000070AC: D1ED0058 00FE592D
	v_perm_b32 v89, v45, v44, s64                              // 0000000070B4: D1ED0059 0102592D
	v_mfma_f32_16x16x16_f16 v[128:131], a[84:85], v[66:67], v[128:131]// 0000000070BC: D3CD0080 0E028554
	ds_read_b128 v[92:95], v10 offset:8704                     // 0000000070C4: D9FE2200 5C00000A
	buffer_load_dword v40, v1, s[20:23], 0 idxen               // 0000000070CC: E0502000 80052801
	v_mfma_f32_16x16x16_f16 v[128:131], a[88:89], v[68:69], v[128:131]// 0000000070D4: D3CD0080 0E028958
	v_perm_b32 v90, v47, v46, s63                              // 0000000070DC: D1ED005A 00FE5D2F
	v_perm_b32 v91, v47, v46, s64                              // 0000000070E4: D1ED005B 01025D2F
	v_mfma_f32_16x16x16_f16 v[128:131], a[92:93], v[70:71], v[128:131]// 0000000070EC: D3CD0080 0E028D5C
	ds_read_b128 v[96:99], v10 offset:9216                     // 0000000070F4: D9FE2400 6000000A
	buffer_load_dword v41, v2, s[20:23], 0 idxen               // 0000000070FC: E0502000 80052902
	v_mfma_f32_16x16x16_f16 v[132:135], a[50:51], v[48:49], 0  // 000000007104: D3CD0084 0A026132
	v_mov_b32_dpp v127, v124 quad_perm:[3,3,3,3] row_mask:0xf bank_mask:0xf// 00000000710C: 7EFE02FA FF00FF7C
	v_mov_b32_dpp v126, v124 quad_perm:[2,2,2,2] row_mask:0xf bank_mask:0xf// 000000007114: 7EFC02FA FF00AA7C
	v_mfma_f32_16x16x16_f16 v[132:135], a[54:55], v[50:51], v[132:135]// 00000000711C: D3CD0084 0E126536
	ds_read_b128 v[100:103], v10 offset:10880                  // 000000007124: D9FE2A80 6400000A
	buffer_load_dword v42, v3, s[20:23], 0 idxen               // 00000000712C: E0502000 80052A03
	v_mfma_f32_16x16x16_f16 v[132:135], a[58:59], v[52:53], v[132:135]// 000000007134: D3CD0084 0E12693A
	v_mov_b32_dpp v125, v124 quad_perm:[1,1,1,1] row_mask:0xf bank_mask:0xf// 00000000713C: 7EFA02FA FF00557C
	v_mov_b32_dpp v124, v124 quad_perm:[0,0,0,0] row_mask:0xf bank_mask:0xf// 000000007144: 7EF802FA FF00007C
	s_add_u32 s60, 64, s59                                     // 00000000714C: 803C3BC0
	v_mfma_f32_16x16x16_f16 v[132:135], a[62:63], v[54:55], v[132:135]// 000000007150: D3CD0084 0E126D3E
	ds_read_b128 v[104:107], v10 offset:11392                  // 000000007158: D9FE2C80 6800000A
	buffer_load_dword v43, v4, s[20:23], 0 idxen               // 000000007160: E0502000 80052B04
	v_mfma_f32_16x16x16_f16 v[132:135], a[66:67], v[56:57], v[132:135]// 000000007168: D3CD0084 0E127142
	s_cmp_lt_u32 s60, s58                                      // 000000007170: BF0A3A3C
	s_cselect_b32 s68, s68, 0                                  // 000000007174: 85448044
	s_cselect_b32 s69, s69, 0                                  // 000000007178: 85458045
	v_mfma_f32_16x16x16_f16 v[132:135], a[70:71], v[58:59], v[132:135]// 00000000717C: D3CD0084 0E127546
	buffer_load_dword v9, s[24:27], 0 idxen lds                // 000000007184: E0512000 80060009
	v_mfma_f32_16x16x16_f16 v[132:135], a[74:75], v[60:61], v[132:135]// 00000000718C: D3CD0084 0E12794A
	s_add_u32 s8, s68, s8                                      // 000000007194: 80080844
	s_addc_u32 s9, 0, s9                                       // 000000007198: 82090980
	v_mfma_f32_16x16x16_f16 v[132:135], a[78:79], v[62:63], v[132:135]// 00000000719C: D3CD0084 0E127D4E
	s_add_u32 s20, s68, s20                                    // 0000000071A4: 80141444
	s_addc_u32 s21, 0, s21                                     // 0000000071A8: 82151580
	v_mfma_f32_16x16x16_f16 v[132:135], a[82:83], v[64:65], v[132:135]// 0000000071AC: D3CD0084 0E128152
	s_mov_b32 m0, s79                                          // 0000000071B4: BEFC004F
	v_add_u32_e32 v9, s69, v9                                  // 0000000071B8: 68121245
	v_mfma_f32_16x16x16_f16 v[132:135], a[86:87], v[66:67], v[132:135]// 0000000071BC: D3CD0084 0E128556
	s_cmp_ge_u32 s59, s73                                      // 0000000071C4: BF09493B
	s_cselect_b32 s66, s67, s66                                // 0000000071C8: 85424243
	v_mfma_f32_16x16x16_f16 v[132:135], a[90:91], v[68:69], v[132:135]// 0000000071CC: D3CD0084 0E12895A
	s_addk_i32 s59, 0x10                                       // 0000000071D4: B73B0010
	s_nop 0                                                    // 0000000071D8: BF800000
	s_cmp_lt_i32 s59, s58                                      // 0000000071DC: BF043A3B
	v_mfma_f32_16x16x16_f16 v[132:135], a[94:95], v[70:71], v[132:135]// 0000000071E0: D3CD0084 0E128D5E
	s_cbranch_scc0 label_0CFC                                  // 0000000071E8: BF840001
	s_branch label_07A3                                        // 0000000071EC: BF82FAA7

00000000000071f0 <label_0CFC>:
	s_nop 0                                                    // 0000000071F0: BF800000
	s_nop 0                                                    // 0000000071F4: BF800000
	s_nop 0                                                    // 0000000071F8: BF800000
	s_nop 0                                                    // 0000000071FC: BF800000
	s_nop 0                                                    // 000000007200: BF800000
	s_nop 0                                                    // 000000007204: BF800000
	s_branch label_125C                                        // 000000007208: BF820559

000000000000720c <label_0D03>:
	s_waitcnt lgkmcnt(4)                                       // 00000000720C: BF8CC47F
	s_barrier                                                  // 000000007210: BF8A0000
	v_mfma_f32_16x16x16_f16 v[48:51], a[144:145], a[0:1], 0    // 000000007214: D3CD0030 1A020190
	v_mul_f32_e32 v128, s48, v128                              // 00000000721C: 0B010030
	v_mul_f32_e32 v129, s48, v129                              // 000000007220: 0B030230
	v_mfma_f32_16x16x16_f16 v[48:51], a[146:147], a[2:3], v[48:51]// 000000007224: D3CD0030 1CC20592
	ds_write_b32 v11, v44 offset:8704                          // 00000000722C: D81A2200 00002C0B
	ds_write_b32 v11, v45 offset:9760                          // 000000007234: D81A2620 00002D0B
	v_mfma_f32_16x16x16_f16 v[48:51], a[148:149], a[4:5], v[48:51]// 00000000723C: D3CD0030 1CC20994
	v_mul_f32_e32 v130, s48, v130                              // 000000007244: 0B050430
	v_mul_f32_e32 v131, s48, v131                              // 000000007248: 0B070630
	v_mfma_f32_16x16x16_f16 v[48:51], a[150:151], a[6:7], v[48:51]// 00000000724C: D3CD0030 1CC20D96
	ds_write_b32 v11, v46 offset:8832                          // 000000007254: D81A2280 00002E0B
	ds_write_b32 v11, v47 offset:9888                          // 00000000725C: D81A26A0 00002F0B
	v_mfma_f32_16x16x16_f16 v[48:51], a[152:153], a[8:9], v[48:51]// 000000007264: D3CD0030 1CC21198
	v_mul_f32_e32 v132, s48, v132                              // 00000000726C: 0B090830
	v_mul_f32_e32 v133, s48, v133                              // 000000007270: 0B0B0A30
	v_mfma_f32_16x16x16_f16 v[48:51], a[154:155], a[10:11], v[48:51]// 000000007274: D3CD0030 1CC2159A
	v_mul_f32_e32 v134, s48, v134                              // 00000000727C: 0B0D0C30
	v_mul_f32_e32 v135, s48, v135                              // 000000007280: 0B0F0E30
	v_mfma_f32_16x16x16_f16 v[48:51], a[156:157], a[12:13], v[48:51]// 000000007284: D3CD0030 1CC2199C
	v_cvt_pkrtz_f16_f32 v128, v128, v129                       // 00000000728C: D2960080 00030380
	v_cvt_pkrtz_f16_f32 v129, v130, v131                       // 000000007294: D2960081 00030782
	v_mfma_f32_16x16x16_f16 v[48:51], a[158:159], a[14:15], v[48:51]// 00000000729C: D3CD0030 1CC21D9E
	v_cvt_pkrtz_f16_f32 v130, v132, v133                       // 0000000072A4: D2960082 00030B84
	v_cvt_pkrtz_f16_f32 v131, v134, v135                       // 0000000072AC: D2960083 00030F86
	v_mfma_f32_16x16x16_f16 v[52:55], a[144:145], a[16:17], 0  // 0000000072B4: D3CD0034 1A022190
	v_mfma_f32_16x16x16_f16 v[52:55], a[146:147], a[18:19], v[52:55]// 0000000072BC: D3CD0034 1CD22592
	ds_write_b64 v20, v[128:129] offset:24320                  // 0000000072C4: D89A5F00 00008014
	v_mfma_f32_16x16x16_f16 v[52:55], a[148:149], a[20:21], v[52:55]// 0000000072CC: D3CD0034 1CD22994
	v_mfma_f32_16x16x16_f16 v[52:55], a[150:151], a[22:23], v[52:55]// 0000000072D4: D3CD0034 1CD22D96
	ds_write_b64 v20, v[130:131] offset:24864                  // 0000000072DC: D89A6120 00008214
	v_mfma_f32_16x16x16_f16 v[52:55], a[152:153], a[24:25], v[52:55]// 0000000072E4: D3CD0034 1CD23198
	v_mfma_f32_16x16x16_f16 v[52:55], a[154:155], a[26:27], v[52:55]// 0000000072EC: D3CD0034 1CD2359A
	ds_read_b128 v[108:111], v12 offset:13056                  // 0000000072F4: D9FE3300 6C00000C
	ds_write_b32 v11, v36                                      // 0000000072FC: D81A0000 0000240B
	v_mfma_f32_16x16x16_f16 v[52:55], a[156:157], a[28:29], v[52:55]// 000000007304: D3CD0034 1CD2399C
	v_mfma_f32_16x16x16_f16 v[52:55], a[158:159], a[30:31], v[52:55]// 00000000730C: D3CD0034 1CD23D9E
	v_mfma_f32_16x16x16_f16 v[56:59], a[144:145], a[32:33], 0  // 000000007314: D3CD0038 1A024190
	ds_read_b128 v[112:115], v12 offset:13568                  // 00000000731C: D9FE3500 7000000C
	ds_write_b32 v11, v37 offset:1056                          // 000000007324: D81A0420 0000250B
	v_mfma_f32_16x16x16_f16 v[56:59], a[146:147], a[34:35], v[56:59]// 00000000732C: D3CD0038 1CE24592
	v_mfma_f32_16x16x16_f16 v[56:59], a[148:149], a[36:37], v[56:59]// 000000007334: D3CD0038 1CE24994
	v_mfma_f32_16x16x16_f16 v[56:59], a[150:151], a[38:39], v[56:59]// 00000000733C: D3CD0038 1CE24D96
	ds_read_b128 v[116:119], v12 offset:15232                  // 000000007344: D9FE3B80 7400000C
	ds_write_b32 v11, v38 offset:128                           // 00000000734C: D81A0080 0000260B
	v_mfma_f32_16x16x16_f16 v[56:59], a[152:153], a[40:41], v[56:59]// 000000007354: D3CD0038 1CE25198
	v_mfma_f32_16x16x16_f16 v[56:59], a[154:155], a[42:43], v[56:59]// 00000000735C: D3CD0038 1CE2559A
	v_mfma_f32_16x16x16_f16 v[56:59], a[156:157], a[44:45], v[56:59]// 000000007364: D3CD0038 1CE2599C
	ds_read_b128 v[120:123], v12 offset:15744                  // 00000000736C: D9FE3D80 7800000C
	ds_write_b32 v11, v39 offset:1184                          // 000000007374: D81A04A0 0000270B
	v_mfma_f32_16x16x16_f16 v[56:59], a[158:159], a[46:47], v[56:59]// 00000000737C: D3CD0038 1CE25D9E
	s_cmp_lt_i32 s74, 12                                       // 000000007384: BF048C4A
	s_cbranch_scc0 label_0DD8                                  // 000000007388: BF840075
	s_mov_b32 s60, 0xffe0fffe                                  // 00000000738C: BEBC00FF FFE0FFFE
	s_mov_b32 s61, 0xe000fe00                                  // 000000007394: BEBD00FF E000FE00
	s_nop 0                                                    // 00000000739C: BF800000
	s_add_u32 s62, 0, s47                                      // 0000000073A0: 803E2F80
	s_cmp_lt_i32 s74, s62                                      // 0000000073A4: BF043E4A
	s_cbranch_scc1 label_0D93                                  // 0000000073A8: BF850028
	s_cmp_eq_i32 s74, s62                                      // 0000000073AC: BF003E4A
	s_cbranch_scc1 label_0D78                                  // 0000000073B0: BF85000B
	s_add_u32 s62, 4, s47                                      // 0000000073B4: 803E2F84
	s_cmp_lt_i32 s74, s62                                      // 0000000073B8: BF043E4A
	s_cbranch_scc1 label_0DB3                                  // 0000000073BC: BF850043
	s_cmp_eq_i32 s74, s62                                      // 0000000073C0: BF003E4A
	s_cbranch_scc1 label_0D98                                  // 0000000073C4: BF850026
	s_add_u32 s62, 8, s47                                      // 0000000073C8: 803E2F88
	s_cmp_lt_i32 s74, s62                                      // 0000000073CC: BF043E4A
	s_cbranch_scc1 label_0DD3                                  // 0000000073D0: BF85005E
	s_cmp_eq_i32 s74, s62                                      // 0000000073D4: BF003E4A
	s_cbranch_scc1 label_0DB8                                  // 0000000073D8: BF850041
	s_branch label_0DD8                                        // 0000000073DC: BF820060

00000000000073e0 <label_0D78>:
	v_cndmask_b32_e64 v48, v48, v151, s[60:61]                 // 0000000073E0: D1000030 00F32F30
	s_lshl_b32 s60, s60, 1                                     // 0000000073E8: 8E3C813C
	s_lshl_b32 s61, s61, 1                                     // 0000000073EC: 8E3D813D
	s_and_b32 s60, 0xfffeffff, s60                             // 0000000073F0: 863C3CFF FFFEFFFF
	s_and_b32 s61, 0xfffeffff, s61                             // 0000000073F8: 863D3DFF FFFEFFFF
	v_cndmask_b32_e64 v49, v49, v151, s[60:61]                 // 000000007400: D1000031 00F32F31
	s_lshl_b32 s60, s60, 1                                     // 000000007408: 8E3C813C
	s_lshl_b32 s61, s61, 1                                     // 00000000740C: 8E3D813D
	s_and_b32 s60, 0xfffeffff, s60                             // 000000007410: 863C3CFF FFFEFFFF
	s_and_b32 s61, 0xfffeffff, s61                             // 000000007418: 863D3DFF FFFEFFFF
	v_cndmask_b32_e64 v50, v50, v151, s[60:61]                 // 000000007420: D1000032 00F32F32
	s_lshl_b32 s60, s60, 1                                     // 000000007428: 8E3C813C
	s_lshl_b32 s61, s61, 1                                     // 00000000742C: 8E3D813D
	s_and_b32 s60, 0xfffeffff, s60                             // 000000007430: 863C3CFF FFFEFFFF
	s_and_b32 s61, 0xfffeffff, s61                             // 000000007438: 863D3DFF FFFEFFFF
	v_cndmask_b32_e64 v51, v51, v151, s[60:61]                 // 000000007440: D1000033 00F32F33
	s_branch label_0DB3                                        // 000000007448: BF820020

000000000000744c <label_0D93>:
	v_mov_b32_e32 v48, v151                                    // 00000000744C: 7E600397
	v_mov_b32_e32 v49, v151                                    // 000000007450: 7E620397
	v_mov_b32_e32 v50, v151                                    // 000000007454: 7E640397
	v_mov_b32_e32 v51, v151                                    // 000000007458: 7E660397
	s_branch label_0DB3                                        // 00000000745C: BF82001B

0000000000007460 <label_0D98>:
	v_cndmask_b32_e64 v52, v52, v151, s[60:61]                 // 000000007460: D1000034 00F32F34
	s_lshl_b32 s60, s60, 1                                     // 000000007468: 8E3C813C
	s_lshl_b32 s61, s61, 1                                     // 00000000746C: 8E3D813D
	s_and_b32 s60, 0xfffeffff, s60                             // 000000007470: 863C3CFF FFFEFFFF
	s_and_b32 s61, 0xfffeffff, s61                             // 000000007478: 863D3DFF FFFEFFFF
	v_cndmask_b32_e64 v53, v53, v151, s[60:61]                 // 000000007480: D1000035 00F32F35
	s_lshl_b32 s60, s60, 1                                     // 000000007488: 8E3C813C
	s_lshl_b32 s61, s61, 1                                     // 00000000748C: 8E3D813D
	s_and_b32 s60, 0xfffeffff, s60                             // 000000007490: 863C3CFF FFFEFFFF
	s_and_b32 s61, 0xfffeffff, s61                             // 000000007498: 863D3DFF FFFEFFFF
	v_cndmask_b32_e64 v54, v54, v151, s[60:61]                 // 0000000074A0: D1000036 00F32F36
	s_lshl_b32 s60, s60, 1                                     // 0000000074A8: 8E3C813C
	s_lshl_b32 s61, s61, 1                                     // 0000000074AC: 8E3D813D
	s_and_b32 s60, 0xfffeffff, s60                             // 0000000074B0: 863C3CFF FFFEFFFF
	s_and_b32 s61, 0xfffeffff, s61                             // 0000000074B8: 863D3DFF FFFEFFFF
	v_cndmask_b32_e64 v55, v55, v151, s[60:61]                 // 0000000074C0: D1000037 00F32F37
	s_branch label_0DD3                                        // 0000000074C8: BF820020

00000000000074cc <label_0DB3>:
	v_mov_b32_e32 v52, v151                                    // 0000000074CC: 7E680397
	v_mov_b32_e32 v53, v151                                    // 0000000074D0: 7E6A0397
	v_mov_b32_e32 v54, v151                                    // 0000000074D4: 7E6C0397
	v_mov_b32_e32 v55, v151                                    // 0000000074D8: 7E6E0397
	s_branch label_0DD3                                        // 0000000074DC: BF82001B

00000000000074e0 <label_0DB8>:
	v_cndmask_b32_e64 v56, v56, v151, s[60:61]                 // 0000000074E0: D1000038 00F32F38
	s_lshl_b32 s60, s60, 1                                     // 0000000074E8: 8E3C813C
	s_lshl_b32 s61, s61, 1                                     // 0000000074EC: 8E3D813D
	s_and_b32 s60, 0xfffeffff, s60                             // 0000000074F0: 863C3CFF FFFEFFFF
	s_and_b32 s61, 0xfffeffff, s61                             // 0000000074F8: 863D3DFF FFFEFFFF
	v_cndmask_b32_e64 v57, v57, v151, s[60:61]                 // 000000007500: D1000039 00F32F39
	s_lshl_b32 s60, s60, 1                                     // 000000007508: 8E3C813C
	s_lshl_b32 s61, s61, 1                                     // 00000000750C: 8E3D813D
	s_and_b32 s60, 0xfffeffff, s60                             // 000000007510: 863C3CFF FFFEFFFF
	s_and_b32 s61, 0xfffeffff, s61                             // 000000007518: 863D3DFF FFFEFFFF
	v_cndmask_b32_e64 v58, v58, v151, s[60:61]                 // 000000007520: D100003A 00F32F3A
	s_lshl_b32 s60, s60, 1                                     // 000000007528: 8E3C813C
	s_lshl_b32 s61, s61, 1                                     // 00000000752C: 8E3D813D
	s_and_b32 s60, 0xfffeffff, s60                             // 000000007530: 863C3CFF FFFEFFFF
	s_and_b32 s61, 0xfffeffff, s61                             // 000000007538: 863D3DFF FFFEFFFF
	v_cndmask_b32_e64 v59, v59, v151, s[60:61]                 // 000000007540: D100003B 00F32F3B
	s_branch label_0DD8                                        // 000000007548: BF820005

000000000000754c <label_0DD3>:
	v_mov_b32_e32 v56, v151                                    // 00000000754C: 7E700397
	v_mov_b32_e32 v57, v151                                    // 000000007550: 7E720397
	v_mov_b32_e32 v58, v151                                    // 000000007554: 7E740397
	v_mov_b32_e32 v59, v151                                    // 000000007558: 7E760397
	s_branch label_0DD8                                        // 00000000755C: BF820000

0000000000007560 <label_0DD8>:
	s_addk_i32 s74, 0x1                                        // 000000007560: B74A0001
	s_waitcnt lgkmcnt(8)                                       // 000000007564: BF8CC87F
	s_barrier                                                  // 000000007568: BF8A0000
	v_mfma_f32_16x16x16_f16 v[72:75], v[92:93], a[96:97], 0    // 00000000756C: D3CD0048 1202C15C
	v_fma_f32 v48, v48, s57, -v124                             // 000000007574: D1CB0030 85F07330
	v_fma_f32 v49, v49, s57, -v125                             // 00000000757C: D1CB0031 85F47331
	v_fma_f32 v50, v50, s57, -v126                             // 000000007584: D1CB0032 85F87332
	v_mfma_f32_16x16x16_f16 v[72:75], v[94:95], a[98:99], v[72:75]// 00000000758C: D3CD0048 1522C55E
	ds_read_b128 a[144:147], v12 offset:4352                   // 000000007594: DBFE1100 9000000C
	ds_read_b128 a[148:151], v12 offset:4864                   // 00000000759C: DBFE1300 9400000C
	v_mfma_f32_16x16x16_f16 v[72:75], v[96:97], a[100:101], v[72:75]// 0000000075A4: D3CD0048 1522C960
	v_fma_f32 v51, v51, s57, -v127                             // 0000000075AC: D1CB0033 85FC7333
	v_fma_f32 v52, v52, s57, -v124                             // 0000000075B4: D1CB0034 85F07334
	v_fma_f32 v53, v53, s57, -v125                             // 0000000075BC: D1CB0035 85F47335
	v_mfma_f32_16x16x16_f16 v[72:75], v[98:99], a[102:103], v[72:75]// 0000000075C4: D3CD0048 1522CD62
	v_fma_f32 v54, v54, s57, -v126                             // 0000000075CC: D1CB0036 85F87336
	v_fma_f32 v55, v55, s57, -v127                             // 0000000075D4: D1CB0037 85FC7337
	v_fma_f32 v56, v56, s57, -v124                             // 0000000075DC: D1CB0038 85F07338
	v_mfma_f32_16x16x16_f16 v[72:75], v[100:101], a[104:105], v[72:75]// 0000000075E4: D3CD0048 1522D164
	v_fma_f32 v57, v57, s57, -v125                             // 0000000075EC: D1CB0039 85F47339
	v_fma_f32 v58, v58, s57, -v126                             // 0000000075F4: D1CB003A 85F8733A
	v_fma_f32 v59, v59, s57, -v127                             // 0000000075FC: D1CB003B 85FC733B
	v_mfma_f32_16x16x16_f16 v[72:75], v[102:103], a[106:107], v[72:75]// 000000007604: D3CD0048 1522D566
	ds_read_b128 a[152:155], v12 offset:6528                   // 00000000760C: DBFE1980 9800000C
	ds_read_b128 a[156:159], v12 offset:7040                   // 000000007614: DBFE1B80 9C00000C
	v_mfma_f32_16x16x16_f16 v[72:75], v[104:105], a[108:109], v[72:75]// 00000000761C: D3CD0048 1522D968
	v_exp_f32_e32 v48, v48                                     // 000000007624: 7E604130
	v_mfma_f32_16x16x16_f16 v[72:75], v[106:107], a[110:111], v[72:75]// 000000007628: D3CD0048 1522DD6A
	v_exp_f32_e32 v49, v49                                     // 000000007630: 7E624131
	v_mfma_f32_16x16x16_f16 v[76:79], v[92:93], a[112:113], 0  // 000000007634: D3CD004C 1202E15C
	v_exp_f32_e32 v50, v50                                     // 00000000763C: 7E644132
	v_mfma_f32_16x16x16_f16 v[76:79], v[94:95], a[114:115], v[76:79]// 000000007640: D3CD004C 1532E55E
	ds_read_b32 v136, v19 offset:24320                         // 000000007648: D86C5F00 88000013
	ds_read_b32 v137, v19 offset:24336                         // 000000007650: D86C5F10 89000013
	v_mfma_f32_16x16x16_f16 v[76:79], v[96:97], a[116:117], v[76:79]// 000000007658: D3CD004C 1532E960
	v_exp_f32_e32 v51, v51                                     // 000000007660: 7E664133
	v_mfma_f32_16x16x16_f16 v[76:79], v[98:99], a[118:119], v[76:79]// 000000007664: D3CD004C 1532ED62
	ds_read_b32 v138, v19 offset:26496                         // 00000000766C: D86C6780 8A000013
	ds_read_b32 v139, v19 offset:26512                         // 000000007674: D86C6790 8B000013
	v_mfma_f32_16x16x16_f16 v[76:79], v[100:101], a[120:121], v[76:79]// 00000000767C: D3CD004C 1532F164
	v_exp_f32_e32 v52, v52                                     // 000000007684: 7E684134
	v_mfma_f32_16x16x16_f16 v[76:79], v[102:103], a[122:123], v[76:79]// 000000007688: D3CD004C 1532F566
	v_exp_f32_e32 v53, v53                                     // 000000007690: 7E6A4135
	v_mfma_f32_16x16x16_f16 v[76:79], v[104:105], a[124:125], v[76:79]// 000000007694: D3CD004C 1532F968
	v_exp_f32_e32 v54, v54                                     // 00000000769C: 7E6C4136
	v_mfma_f32_16x16x16_f16 v[76:79], v[106:107], a[126:127], v[76:79]// 0000000076A0: D3CD004C 1532FD6A
	v_exp_f32_e32 v55, v55                                     // 0000000076A8: 7E6E4137
	v_mfma_f32_16x16x16_f16 v[80:83], v[92:93], a[128:129], 0  // 0000000076AC: D3CD0050 1203015C
	v_exp_f32_e32 v56, v56                                     // 0000000076B4: 7E704138
	v_mfma_f32_16x16x16_f16 v[80:83], v[94:95], a[130:131], v[80:83]// 0000000076B8: D3CD0050 1543055E
	v_exp_f32_e32 v57, v57                                     // 0000000076C0: 7E724139
	v_mfma_f32_16x16x16_f16 v[80:83], v[96:97], a[132:133], v[80:83]// 0000000076C4: D3CD0050 15430960
	v_exp_f32_e32 v58, v58                                     // 0000000076CC: 7E74413A
	v_mfma_f32_16x16x16_f16 v[80:83], v[98:99], a[134:135], v[80:83]// 0000000076D0: D3CD0050 15430D62
	v_exp_f32_e32 v59, v59                                     // 0000000076D8: 7E76413B
	v_mfma_f32_16x16x16_f16 v[80:83], v[100:101], a[136:137], v[80:83]// 0000000076DC: D3CD0050 15431164
	v_cvt_pkrtz_f16_f32 v144, v48, v49                         // 0000000076E4: D2960090 00026330
	v_cvt_pkrtz_f16_f32 v145, v50, v51                         // 0000000076EC: D2960091 00026732
	v_cvt_pkrtz_f16_f32 v146, v52, v53                         // 0000000076F4: D2960092 00026B34
	v_mfma_f32_16x16x16_f16 v[80:83], v[102:103], a[138:139], v[80:83]// 0000000076FC: D3CD0050 15431566
	v_cvt_pkrtz_f16_f32 v147, v54, v55                         // 000000007704: D2960093 00026F36
	v_cvt_pkrtz_f16_f32 v148, v56, v57                         // 00000000770C: D2960094 00027338
	v_cvt_pkrtz_f16_f32 v149, v58, v59                         // 000000007714: D2960095 0002773A
	v_mfma_f32_16x16x16_f16 v[80:83], v[104:105], a[140:141], v[80:83]// 00000000771C: D3CD0050 15431968
	s_add_u32 s32, s66, s32                                    // 000000007724: 80202042
	s_addc_u32 s33, 0, s33                                     // 000000007728: 82212180
	v_mfma_f32_16x16x16_f16 v[80:83], v[106:107], a[142:143], v[80:83]// 00000000772C: D3CD0050 15431D6A
	s_waitcnt lgkmcnt(0)                                       // 000000007734: BF8CC07F
	s_barrier                                                  // 000000007738: BF8A0000
	v_mfma_f32_16x16x16_f16 v[152:155], v[108:109], v[144:145], v[152:155]// 00000000773C: D3CD0098 0663216C
	v_subrev_f32_dpp v72, v150, v72 quad_perm:[0,0,0,0] row_mask:0xf bank_mask:0xf// 000000007744: 069090FA FF000096
	v_subrev_f32_dpp v73, v150, v73 quad_perm:[1,1,1,1] row_mask:0xf bank_mask:0xf// 00000000774C: 069292FA FF005596
	v_subrev_f32_dpp v74, v150, v74 quad_perm:[2,2,2,2] row_mask:0xf bank_mask:0xf// 000000007754: 069494FA FF00AA96
	v_mfma_f32_16x16x16_f16 v[156:159], v[110:111], v[144:145], v[156:159]// 00000000775C: D3CD009C 0673216E
	v_subrev_f32_dpp v75, v150, v75 quad_perm:[3,3,3,3] row_mask:0xf bank_mask:0xf// 000000007764: 069696FA FF00FF96
	v_subrev_f32_dpp v76, v150, v76 quad_perm:[0,0,0,0] row_mask:0xf bank_mask:0xf// 00000000776C: 069898FA FF000096
	v_subrev_f32_dpp v77, v150, v77 quad_perm:[1,1,1,1] row_mask:0xf bank_mask:0xf// 000000007774: 069A9AFA FF005596
	v_mfma_f32_16x16x16_f16 v[160:163], v[112:113], v[144:145], v[160:163]// 00000000777C: D3CD00A0 06832170
	v_mul_f32_e32 v72, v48, v72                                // 000000007784: 0A909130
	v_mul_f32_e32 v73, v49, v73                                // 000000007788: 0A929331
	v_mul_f32_e32 v74, v50, v74                                // 00000000778C: 0A949532
	v_mfma_f32_16x16x16_f16 v[164:167], v[114:115], v[144:145], v[164:167]// 000000007790: D3CD00A4 06932172
	v_mul_f32_e32 v75, v51, v75                                // 000000007798: 0A969733
	v_mul_f32_e32 v76, v52, v76                                // 00000000779C: 0A989934
	v_mul_f32_e32 v77, v53, v77                                // 0000000077A0: 0A9A9B35
	v_mfma_f32_16x16x16_f16 v[168:171], v[116:117], v[144:145], v[168:171]// 0000000077A4: D3CD00A8 06A32174
	v_cvt_pkrtz_f16_f32 v72, v72, v73                          // 0000000077AC: D2960048 00029348
	v_cvt_pkrtz_f16_f32 v73, v74, v75                          // 0000000077B4: D2960049 0002974A
	v_cvt_pkrtz_f16_f32 v74, v76, v77                          // 0000000077BC: D296004A 00029B4C
	v_mfma_f32_16x16x16_f16 v[172:175], v[118:119], v[144:145], v[172:175]// 0000000077C4: D3CD00AC 06B32176
	v_mov_b32_dpp v16, v72 quad_perm:[1,0,3,2] row_mask:0xf bank_mask:0xf// 0000000077CC: 7E2002FA FF00B148
	v_perm_b32 v48, v16, v72, v15                              // 0000000077D4: D1ED0030 043E9110
	v_mov_b32_dpp v16, v73 quad_perm:[1,0,3,2] row_mask:0xf bank_mask:0xf// 0000000077DC: 7E2002FA FF00B149
	v_mfma_f32_16x16x16_f16 v[176:179], v[120:121], v[144:145], v[176:179]// 0000000077E4: D3CD00B0 06C32178
	ds_write_b32 v18, v48 offset:17408                         // 0000000077EC: D81A4400 00003012
	v_mfma_f32_16x16x16_f16 v[180:183], v[122:123], v[144:145], v[180:183]// 0000000077F4: D3CD00B4 06D3217A
	v_perm_b32 v49, v16, v73, v15                              // 0000000077FC: D1ED0031 043E9310
	v_mov_b32_dpp v16, v74 quad_perm:[1,0,3,2] row_mask:0xf bank_mask:0xf// 000000007804: 7E2002FA FF00B14A
	v_perm_b32 v50, v16, v74, v15                              // 00000000780C: D1ED0032 043E9510
	v_mfma_f32_16x16x16_f16 v[184:187], v[108:109], v[146:147], v[184:187]// 000000007814: D3CD00B8 06E3256C
	ds_write_b32 v18, v49 offset:17952                         // 00000000781C: D81A4620 00003112
	v_mfma_f32_16x16x16_f16 v[188:191], v[110:111], v[146:147], v[188:191]// 000000007824: D3CD00BC 06F3256E
	v_subrev_f32_dpp v78, v150, v78 quad_perm:[2,2,2,2] row_mask:0xf bank_mask:0xf// 00000000782C: 069C9CFA FF00AA96
	v_subrev_f32_dpp v79, v150, v79 quad_perm:[3,3,3,3] row_mask:0xf bank_mask:0xf// 000000007834: 069E9EFA FF00FF96
	v_subrev_f32_dpp v80, v150, v80 quad_perm:[0,0,0,0] row_mask:0xf bank_mask:0xf// 00000000783C: 06A0A0FA FF000096
	v_mfma_f32_16x16x16_f16 v[192:195], v[112:113], v[146:147], v[192:195]// 000000007844: D3CD00C0 07032570
	ds_write_b32 v18, v50 offset:19712                         // 00000000784C: D81A4D00 00003212
	v_mfma_f32_16x16x16_f16 v[196:199], v[114:115], v[146:147], v[196:199]// 000000007854: D3CD00C4 07132572
	v_subrev_f32_dpp v81, v150, v81 quad_perm:[1,1,1,1] row_mask:0xf bank_mask:0xf// 00000000785C: 06A2A2FA FF005596
	v_subrev_f32_dpp v82, v150, v82 quad_perm:[2,2,2,2] row_mask:0xf bank_mask:0xf// 000000007864: 06A4A4FA FF00AA96
	v_subrev_f32_dpp v83, v150, v83 quad_perm:[3,3,3,3] row_mask:0xf bank_mask:0xf// 00000000786C: 06A6A6FA FF00FF96
	v_mfma_f32_16x16x16_f16 v[200:203], v[116:117], v[146:147], v[200:203]// 000000007874: D3CD00C8 07232574
	v_mul_f32_e32 v78, v54, v78                                // 00000000787C: 0A9C9D36
	v_mul_f32_e32 v79, v55, v79                                // 000000007880: 0A9E9F37
	v_mul_f32_e32 v80, v56, v80                                // 000000007884: 0AA0A138
	v_mfma_f32_16x16x16_f16 v[204:207], v[118:119], v[146:147], v[204:207]// 000000007888: D3CD00CC 07332576
	v_mul_f32_e32 v81, v57, v81                                // 000000007890: 0AA2A339
	v_mul_f32_e32 v82, v58, v82                                // 000000007894: 0AA4A53A
	v_mul_f32_e32 v83, v59, v83                                // 000000007898: 0AA6A73B
	v_mfma_f32_16x16x16_f16 v[208:211], v[120:121], v[146:147], v[208:211]// 00000000789C: D3CD00D0 07432578
	v_cvt_pkrtz_f16_f32 v75, v78, v79                          // 0000000078A4: D296004B 00029F4E
	v_cvt_pkrtz_f16_f32 v76, v80, v81                          // 0000000078AC: D296004C 0002A350
	v_cvt_pkrtz_f16_f32 v77, v82, v83                          // 0000000078B4: D296004D 0002A752
	v_mfma_f32_16x16x16_f16 v[212:215], v[122:123], v[146:147], v[212:215]// 0000000078BC: D3CD00D4 0753257A
	v_mov_b32_dpp v16, v75 quad_perm:[1,0,3,2] row_mask:0xf bank_mask:0xf// 0000000078C4: 7E2002FA FF00B14B
	v_perm_b32 v51, v16, v75, v15                              // 0000000078CC: D1ED0033 043E9710
	v_mov_b32_dpp v16, v76 quad_perm:[1,0,3,2] row_mask:0xf bank_mask:0xf// 0000000078D4: 7E2002FA FF00B14C
	v_mfma_f32_16x16x16_f16 v[216:219], v[108:109], v[148:149], v[216:219]// 0000000078DC: D3CD00D8 0763296C
	ds_write_b32 v18, v51 offset:20256                         // 0000000078E4: D81A4F20 00003312
	v_mfma_f32_16x16x16_f16 v[220:223], v[110:111], v[148:149], v[220:223]// 0000000078EC: D3CD00DC 0773296E
	v_perm_b32 v52, v16, v76, v15                              // 0000000078F4: D1ED0034 043E9910
	v_mov_b32_dpp v16, v77 quad_perm:[1,0,3,2] row_mask:0xf bank_mask:0xf// 0000000078FC: 7E2002FA FF00B14D
	v_perm_b32 v53, v16, v77, v15                              // 000000007904: D1ED0035 043E9B10
	v_mfma_f32_16x16x16_f16 v[224:227], v[112:113], v[148:149], v[224:227]// 00000000790C: D3CD00E0 07832970
	ds_write_b32 v18, v52 offset:22016                         // 000000007914: D81A5600 00003412
	ds_write_b32 v18, v53 offset:22560                         // 00000000791C: D81A5820 00003512
	v_mfma_f32_16x16x16_f16 v[228:231], v[114:115], v[148:149], v[228:231]// 000000007924: D3CD00E4 07932972
	v_mfma_f32_16x16x16_f16 v[232:235], v[116:117], v[148:149], v[232:235]// 00000000792C: D3CD00E8 07A32974
	ds_write_b32 v13, v84 offset:4352                          // 000000007934: D81A1100 0000540D
	ds_write_b32 v13, v85 offset:5408                          // 00000000793C: D81A1520 0000550D
	v_mfma_f32_16x16x16_f16 v[236:239], v[118:119], v[148:149], v[236:239]// 000000007944: D3CD00EC 07B32976
	v_mfma_f32_16x16x16_f16 v[240:243], v[120:121], v[148:149], v[240:243]// 00000000794C: D3CD00F0 07C32978
	ds_write_b32 v13, v86 offset:4480                          // 000000007954: D81A1180 0000560D
	ds_write_b32 v13, v87 offset:5536                          // 00000000795C: D81A15A0 0000570D
	v_mfma_f32_16x16x16_f16 v[244:247], v[122:123], v[148:149], v[244:247]// 000000007964: D3CD00F4 07D3297A
	s_nop 0                                                    // 00000000796C: BF800000
	s_nop 0                                                    // 000000007970: BF800000
	s_nop 0                                                    // 000000007974: BF800000
	s_barrier                                                  // 000000007978: BF8A0000
	v_mfma_f32_16x16x16_f16 a[160:163], a[144:145], v[72:73], a[160:163]// 00000000797C: D3CD80A0 0E829190
	ds_read_b32 v124, v21 offset:51200                         // 000000007984: D86CC800 7C000015
	ds_read_b32 v150, v21 offset:51456                         // 00000000798C: D86CC900 96000015
	v_mfma_f32_16x16x16_f16 a[164:167], a[146:147], v[72:73], a[164:167]// 000000007994: D3CD80A4 0E929192
	buffer_atomic_pk_add_f16 v136, v7, s[32:35], 0 idxen       // 00000000799C: E1382000 80088807
	v_mfma_f32_16x16x16_f16 a[168:171], a[148:149], v[72:73], a[168:171]// 0000000079A4: D3CD80A8 0EA29194
	s_waitcnt lgkmcnt(6)                                       // 0000000079AC: BF8CC67F
	s_barrier                                                  // 0000000079B0: BF8A0000
	v_mfma_f32_16x16x16_f16 a[172:175], a[150:151], v[72:73], a[172:175]// 0000000079B4: D3CD80AC 0EB29196
	v_mfma_f32_16x16x16_f16 a[176:179], a[152:153], v[72:73], a[176:179]// 0000000079BC: D3CD80B0 0EC29198
	ds_read_b128 v[48:51], v17 offset:17408                    // 0000000079C4: D9FE4400 30000011
	v_mfma_f32_16x16x16_f16 a[180:183], a[154:155], v[72:73], a[180:183]// 0000000079CC: D3CD80B4 0ED2919A
	v_mfma_f32_16x16x16_f16 a[184:187], a[156:157], v[72:73], a[184:187]// 0000000079D4: D3CD80B8 0EE2919C
	ds_read_b128 v[52:55], v17 offset:18560                    // 0000000079DC: D9FE4880 34000011
	v_mfma_f32_16x16x16_f16 a[188:191], a[158:159], v[72:73], a[188:191]// 0000000079E4: D3CD80BC 0EF2919E
	buffer_atomic_pk_add_f16 v137, v8, s[32:35], 0 idxen       // 0000000079EC: E1382000 80088908
	v_mfma_f32_16x16x16_f16 a[192:195], a[144:145], v[74:75], a[192:195]// 0000000079F4: D3CD80C0 0F029590
	ds_read_b128 v[56:59], v17 offset:19712                    // 0000000079FC: D9FE4D00 38000011
	v_mfma_f32_16x16x16_f16 a[196:199], a[146:147], v[74:75], a[196:199]// 000000007A04: D3CD80C4 0F129592
	v_mfma_f32_16x16x16_f16 a[200:203], a[148:149], v[74:75], a[200:203]// 000000007A0C: D3CD80C8 0F229594
	ds_read_b128 v[60:63], v17 offset:20864                    // 000000007A14: D9FE5180 3C000011
	v_mfma_f32_16x16x16_f16 a[204:207], a[150:151], v[74:75], a[204:207]// 000000007A1C: D3CD80CC 0F329596
	v_mfma_f32_16x16x16_f16 a[208:211], a[152:153], v[74:75], a[208:211]// 000000007A24: D3CD80D0 0F429598
	ds_read_b128 v[64:67], v17 offset:22016                    // 000000007A2C: D9FE5600 40000011
	v_mfma_f32_16x16x16_f16 a[212:215], a[154:155], v[74:75], a[212:215]// 000000007A34: D3CD80D4 0F52959A
	buffer_atomic_pk_add_f16 v138, v7, s[32:35], 0 idxen offset:128// 000000007A3C: E1382080 80088A07
	v_mfma_f32_16x16x16_f16 a[216:219], a[156:157], v[74:75], a[216:219]// 000000007A44: D3CD80D8 0F62959C
	ds_read_b128 v[68:71], v17 offset:23168                    // 000000007A4C: D9FE5A80 44000011
	v_mfma_f32_16x16x16_f16 a[220:223], a[158:159], v[74:75], a[220:223]// 000000007A54: D3CD80DC 0F72959E
	v_mfma_f32_16x16x16_f16 a[224:227], a[144:145], v[76:77], a[224:227]// 000000007A5C: D3CD80E0 0F829990
	ds_write_b32 v13, v88 offset:13056                         // 000000007A64: D81A3300 0000580D
	v_mfma_f32_16x16x16_f16 a[228:231], a[146:147], v[76:77], a[228:231]// 000000007A6C: D3CD80E4 0F929992
	v_mfma_f32_16x16x16_f16 a[232:235], a[148:149], v[76:77], a[232:235]// 000000007A74: D3CD80E8 0FA29994
	ds_write_b32 v13, v89 offset:14112                         // 000000007A7C: D81A3720 0000590D
	v_mfma_f32_16x16x16_f16 a[236:239], a[150:151], v[76:77], a[236:239]// 000000007A84: D3CD80EC 0FB29996
	buffer_atomic_pk_add_f16 v139, v8, s[32:35], 0 idxen offset:128// 000000007A8C: E1382080 80088B08
	v_mfma_f32_16x16x16_f16 a[240:243], a[152:153], v[76:77], a[240:243]// 000000007A94: D3CD80F0 0FC29998
	ds_write_b32 v13, v90 offset:13184                         // 000000007A9C: D81A3380 00005A0D
	v_mfma_f32_16x16x16_f16 a[244:247], a[154:155], v[76:77], a[244:247]// 000000007AA4: D3CD80F4 0FD2999A
	v_mfma_f32_16x16x16_f16 a[248:251], a[156:157], v[76:77], a[248:251]// 000000007AAC: D3CD80F8 0FE2999C
	ds_write_b32 v13, v91 offset:14240                         // 000000007AB4: D81A37A0 00005B0D
	v_mfma_f32_16x16x16_f16 a[252:255], a[158:159], v[76:77], a[252:255]// 000000007ABC: D3CD80FC 0FF2999E
	s_waitcnt vmcnt(4) lgkmcnt(4)                              // 000000007AC4: BF8C0474
	s_barrier                                                  // 000000007AC8: BF8A0000
	v_mfma_f32_16x16x16_f16 v[128:131], a[48:49], v[48:49], 0  // 000000007ACC: D3CD0080 0A026130
	ds_read_b128 a[144:147], v10                               // 000000007AD4: DBFE0000 9000000A
	buffer_load_dword v36, v1, s[8:11], 0 idxen                // 000000007ADC: E0502000 80022401
	v_mfma_f32_16x16x16_f16 v[128:131], a[52:53], v[50:51], v[128:131]// 000000007AE4: D3CD0080 0E026534
	v_mul_f32_e32 v124, s49, v124                              // 000000007AEC: 0AF8F831
	s_nop 0                                                    // 000000007AF0: BF800000
	v_mfma_f32_16x16x16_f16 v[128:131], a[56:57], v[52:53], v[128:131]// 000000007AF4: D3CD0080 0E026938
	ds_read_b128 a[148:151], v10 offset:512                    // 000000007AFC: DBFE0200 9400000A
	buffer_load_dword v37, v2, s[8:11], 0 idxen                // 000000007B04: E0502000 80022502
	v_mfma_f32_16x16x16_f16 v[128:131], a[60:61], v[54:55], v[128:131]// 000000007B0C: D3CD0080 0E026D3C
	v_mfma_f32_16x16x16_f16 v[128:131], a[64:65], v[56:57], v[128:131]// 000000007B14: D3CD0080 0E027140
	ds_read_b128 a[152:155], v10 offset:2176                   // 000000007B1C: DBFE0880 9800000A
	buffer_load_dword v38, v3, s[8:11], 0 idxen                // 000000007B24: E0502000 80022603
	v_mfma_f32_16x16x16_f16 v[128:131], a[68:69], v[58:59], v[128:131]// 000000007B2C: D3CD0080 0E027544
	v_perm_b32 v84, v33, v32, s63                              // 000000007B34: D1ED0054 00FE4121
	v_perm_b32 v85, v33, v32, s64                              // 000000007B3C: D1ED0055 01024121
	v_mfma_f32_16x16x16_f16 v[128:131], a[72:73], v[60:61], v[128:131]// 000000007B44: D3CD0080 0E027948
	ds_read_b128 a[156:159], v10 offset:2688                   // 000000007B4C: DBFE0A80 9C00000A
	buffer_load_dword v39, v4, s[8:11], 0 idxen                // 000000007B54: E0502000 80022704
	v_mfma_f32_16x16x16_f16 v[128:131], a[76:77], v[62:63], v[128:131]// 000000007B5C: D3CD0080 0E027D4C
	v_perm_b32 v86, v35, v34, s63                              // 000000007B64: D1ED0056 00FE4523
	v_perm_b32 v87, v35, v34, s64                              // 000000007B6C: D1ED0057 01024523
	v_mfma_f32_16x16x16_f16 v[128:131], a[80:81], v[64:65], v[128:131]// 000000007B74: D3CD0080 0E028150
	ds_read_b128 v[92:95], v10 offset:8704                     // 000000007B7C: D9FE2200 5C00000A
	buffer_load_dword v44, v1, s[20:23], 0 idxen               // 000000007B84: E0502000 80052C01
	v_mfma_f32_16x16x16_f16 v[128:131], a[84:85], v[66:67], v[128:131]// 000000007B8C: D3CD0080 0E028554
	v_perm_b32 v88, v41, v40, s63                              // 000000007B94: D1ED0058 00FE5129
	v_perm_b32 v89, v41, v40, s64                              // 000000007B9C: D1ED0059 01025129
	v_mfma_f32_16x16x16_f16 v[128:131], a[88:89], v[68:69], v[128:131]// 000000007BA4: D3CD0080 0E028958
	ds_read_b128 v[96:99], v10 offset:9216                     // 000000007BAC: D9FE2400 6000000A
	buffer_load_dword v45, v2, s[20:23], 0 idxen               // 000000007BB4: E0502000 80052D02
	v_mfma_f32_16x16x16_f16 v[128:131], a[92:93], v[70:71], v[128:131]// 000000007BBC: D3CD0080 0E028D5C
	v_perm_b32 v90, v43, v42, s63                              // 000000007BC4: D1ED005A 00FE552B
	v_perm_b32 v91, v43, v42, s64                              // 000000007BCC: D1ED005B 0102552B
	v_mfma_f32_16x16x16_f16 v[132:135], a[50:51], v[48:49], 0  // 000000007BD4: D3CD0084 0A026132
	ds_read_b128 v[100:103], v10 offset:10880                  // 000000007BDC: D9FE2A80 6400000A
	buffer_load_dword v46, v3, s[20:23], 0 idxen               // 000000007BE4: E0502000 80052E03
	v_mfma_f32_16x16x16_f16 v[132:135], a[54:55], v[50:51], v[132:135]// 000000007BEC: D3CD0084 0E126536
	v_mov_b32_dpp v127, v124 quad_perm:[3,3,3,3] row_mask:0xf bank_mask:0xf// 000000007BF4: 7EFE02FA FF00FF7C
	v_mov_b32_dpp v126, v124 quad_perm:[2,2,2,2] row_mask:0xf bank_mask:0xf// 000000007BFC: 7EFC02FA FF00AA7C
	v_mfma_f32_16x16x16_f16 v[132:135], a[58:59], v[52:53], v[132:135]// 000000007C04: D3CD0084 0E12693A
	ds_read_b128 v[104:107], v10 offset:11392                  // 000000007C0C: D9FE2C80 6800000A
	buffer_load_dword v47, v4, s[20:23], 0 idxen               // 000000007C14: E0502000 80052F04
	v_mfma_f32_16x16x16_f16 v[132:135], a[62:63], v[54:55], v[132:135]// 000000007C1C: D3CD0084 0E126D3E
	v_mov_b32_dpp v125, v124 quad_perm:[1,1,1,1] row_mask:0xf bank_mask:0xf// 000000007C24: 7EFA02FA FF00557C
	v_mov_b32_dpp v124, v124 quad_perm:[0,0,0,0] row_mask:0xf bank_mask:0xf// 000000007C2C: 7EF802FA FF00007C
	s_add_u32 s60, 64, s59                                     // 000000007C34: 803C3BC0
	v_mfma_f32_16x16x16_f16 v[132:135], a[66:67], v[56:57], v[132:135]// 000000007C38: D3CD0084 0E127142
	buffer_load_dword v9, s[24:27], 0 idxen lds                // 000000007C40: E0512000 80060009
	v_mfma_f32_16x16x16_f16 v[132:135], a[70:71], v[58:59], v[132:135]// 000000007C48: D3CD0084 0E127546
	s_cmp_lt_u32 s60, s58                                      // 000000007C50: BF0A3A3C
	s_cselect_b32 s68, s68, 0                                  // 000000007C54: 85448044
	s_cselect_b32 s69, s69, 0                                  // 000000007C58: 85458045
	v_mfma_f32_16x16x16_f16 v[132:135], a[74:75], v[60:61], v[132:135]// 000000007C5C: D3CD0084 0E12794A
	s_add_u32 s8, s68, s8                                      // 000000007C64: 80080844
	s_addc_u32 s9, 0, s9                                       // 000000007C68: 82090980
	v_mfma_f32_16x16x16_f16 v[132:135], a[78:79], v[62:63], v[132:135]// 000000007C6C: D3CD0084 0E127D4E
	s_add_u32 s20, s68, s20                                    // 000000007C74: 80141444
	s_addc_u32 s21, 0, s21                                     // 000000007C78: 82151580
	v_mfma_f32_16x16x16_f16 v[132:135], a[82:83], v[64:65], v[132:135]// 000000007C7C: D3CD0084 0E128152
	s_mov_b32 m0, s78                                          // 000000007C84: BEFC004E
	v_add_u32_e32 v9, s69, v9                                  // 000000007C88: 68121245
	v_mfma_f32_16x16x16_f16 v[132:135], a[86:87], v[66:67], v[132:135]// 000000007C8C: D3CD0084 0E128556
	s_cmp_ge_u32 s59, s73                                      // 000000007C94: BF09493B
	s_cselect_b32 s66, s67, s66                                // 000000007C98: 85424243
	v_mfma_f32_16x16x16_f16 v[132:135], a[90:91], v[68:69], v[132:135]// 000000007C9C: D3CD0084 0E12895A
	s_addk_i32 s59, 0x10                                       // 000000007CA4: B73B0010
	s_nop 0                                                    // 000000007CA8: BF800000
	s_cmp_lt_i32 s59, s58                                      // 000000007CAC: BF043A3B
	v_mfma_f32_16x16x16_f16 v[132:135], a[94:95], v[70:71], v[132:135]// 000000007CB0: D3CD0084 0E128D5E
	s_cbranch_scc0 label_0CFC                                  // 000000007CB8: BF84FD4D
	s_waitcnt lgkmcnt(4)                                       // 000000007CBC: BF8CC47F
	s_barrier                                                  // 000000007CC0: BF8A0000
	v_mfma_f32_16x16x16_f16 v[48:51], a[144:145], a[0:1], 0    // 000000007CC4: D3CD0030 1A020190
	v_mul_f32_e32 v128, s48, v128                              // 000000007CCC: 0B010030
	v_mul_f32_e32 v129, s48, v129                              // 000000007CD0: 0B030230
	v_mfma_f32_16x16x16_f16 v[48:51], a[146:147], a[2:3], v[48:51]// 000000007CD4: D3CD0030 1CC20592
	ds_write_b32 v11, v40 offset:8704                          // 000000007CDC: D81A2200 0000280B
	ds_write_b32 v11, v41 offset:9760                          // 000000007CE4: D81A2620 0000290B
	v_mfma_f32_16x16x16_f16 v[48:51], a[148:149], a[4:5], v[48:51]// 000000007CEC: D3CD0030 1CC20994
	v_mul_f32_e32 v130, s48, v130                              // 000000007CF4: 0B050430
	v_mul_f32_e32 v131, s48, v131                              // 000000007CF8: 0B070630
	v_mfma_f32_16x16x16_f16 v[48:51], a[150:151], a[6:7], v[48:51]// 000000007CFC: D3CD0030 1CC20D96
	ds_write_b32 v11, v42 offset:8832                          // 000000007D04: D81A2280 00002A0B
	ds_write_b32 v11, v43 offset:9888                          // 000000007D0C: D81A26A0 00002B0B
	v_mfma_f32_16x16x16_f16 v[48:51], a[152:153], a[8:9], v[48:51]// 000000007D14: D3CD0030 1CC21198
	v_mul_f32_e32 v132, s48, v132                              // 000000007D1C: 0B090830
	v_mul_f32_e32 v133, s48, v133                              // 000000007D20: 0B0B0A30
	v_mfma_f32_16x16x16_f16 v[48:51], a[154:155], a[10:11], v[48:51]// 000000007D24: D3CD0030 1CC2159A
	v_mul_f32_e32 v134, s48, v134                              // 000000007D2C: 0B0D0C30
	v_mul_f32_e32 v135, s48, v135                              // 000000007D30: 0B0F0E30
	v_mfma_f32_16x16x16_f16 v[48:51], a[156:157], a[12:13], v[48:51]// 000000007D34: D3CD0030 1CC2199C
	v_cvt_pkrtz_f16_f32 v128, v128, v129                       // 000000007D3C: D2960080 00030380
	v_cvt_pkrtz_f16_f32 v129, v130, v131                       // 000000007D44: D2960081 00030782
	v_mfma_f32_16x16x16_f16 v[48:51], a[158:159], a[14:15], v[48:51]// 000000007D4C: D3CD0030 1CC21D9E
	v_cvt_pkrtz_f16_f32 v130, v132, v133                       // 000000007D54: D2960082 00030B84
	v_cvt_pkrtz_f16_f32 v131, v134, v135                       // 000000007D5C: D2960083 00030F86
	v_mfma_f32_16x16x16_f16 v[52:55], a[144:145], a[16:17], 0  // 000000007D64: D3CD0034 1A022190
	v_mfma_f32_16x16x16_f16 v[52:55], a[146:147], a[18:19], v[52:55]// 000000007D6C: D3CD0034 1CD22592
	ds_write_b64 v20, v[128:129] offset:24320                  // 000000007D74: D89A5F00 00008014
	v_mfma_f32_16x16x16_f16 v[52:55], a[148:149], a[20:21], v[52:55]// 000000007D7C: D3CD0034 1CD22994
	v_mfma_f32_16x16x16_f16 v[52:55], a[150:151], a[22:23], v[52:55]// 000000007D84: D3CD0034 1CD22D96
	ds_write_b64 v20, v[130:131] offset:24864                  // 000000007D8C: D89A6120 00008214
	v_mfma_f32_16x16x16_f16 v[52:55], a[152:153], a[24:25], v[52:55]// 000000007D94: D3CD0034 1CD23198
	v_mfma_f32_16x16x16_f16 v[52:55], a[154:155], a[26:27], v[52:55]// 000000007D9C: D3CD0034 1CD2359A
	ds_read_b128 v[108:111], v12 offset:13056                  // 000000007DA4: D9FE3300 6C00000C
	ds_write_b32 v11, v32                                      // 000000007DAC: D81A0000 0000200B
	v_mfma_f32_16x16x16_f16 v[52:55], a[156:157], a[28:29], v[52:55]// 000000007DB4: D3CD0034 1CD2399C
	v_mfma_f32_16x16x16_f16 v[52:55], a[158:159], a[30:31], v[52:55]// 000000007DBC: D3CD0034 1CD23D9E
	v_mfma_f32_16x16x16_f16 v[56:59], a[144:145], a[32:33], 0  // 000000007DC4: D3CD0038 1A024190
	ds_read_b128 v[112:115], v12 offset:13568                  // 000000007DCC: D9FE3500 7000000C
	ds_write_b32 v11, v33 offset:1056                          // 000000007DD4: D81A0420 0000210B
	v_mfma_f32_16x16x16_f16 v[56:59], a[146:147], a[34:35], v[56:59]// 000000007DDC: D3CD0038 1CE24592
	v_mfma_f32_16x16x16_f16 v[56:59], a[148:149], a[36:37], v[56:59]// 000000007DE4: D3CD0038 1CE24994
	v_mfma_f32_16x16x16_f16 v[56:59], a[150:151], a[38:39], v[56:59]// 000000007DEC: D3CD0038 1CE24D96
	ds_read_b128 v[116:119], v12 offset:15232                  // 000000007DF4: D9FE3B80 7400000C
	ds_write_b32 v11, v34 offset:128                           // 000000007DFC: D81A0080 0000220B
	v_mfma_f32_16x16x16_f16 v[56:59], a[152:153], a[40:41], v[56:59]// 000000007E04: D3CD0038 1CE25198
	v_mfma_f32_16x16x16_f16 v[56:59], a[154:155], a[42:43], v[56:59]// 000000007E0C: D3CD0038 1CE2559A
	v_mfma_f32_16x16x16_f16 v[56:59], a[156:157], a[44:45], v[56:59]// 000000007E14: D3CD0038 1CE2599C
	ds_read_b128 v[120:123], v12 offset:15744                  // 000000007E1C: D9FE3D80 7800000C
	ds_write_b32 v11, v35 offset:1184                          // 000000007E24: D81A04A0 0000230B
	v_mfma_f32_16x16x16_f16 v[56:59], a[158:159], a[46:47], v[56:59]// 000000007E2C: D3CD0038 1CE25D9E
	s_cmp_lt_i32 s74, 12                                       // 000000007E34: BF048C4A
	s_cbranch_scc0 label_1084                                  // 000000007E38: BF840075
	s_mov_b32 s60, 0xffe0fffe                                  // 000000007E3C: BEBC00FF FFE0FFFE
	s_mov_b32 s61, 0xe000fe00                                  // 000000007E44: BEBD00FF E000FE00
	s_nop 0                                                    // 000000007E4C: BF800000
	s_add_u32 s62, 0, s47                                      // 000000007E50: 803E2F80
	s_cmp_lt_i32 s74, s62                                      // 000000007E54: BF043E4A
	s_cbranch_scc1 label_103F                                  // 000000007E58: BF850028
	s_cmp_eq_i32 s74, s62                                      // 000000007E5C: BF003E4A
	s_cbranch_scc1 label_1024                                  // 000000007E60: BF85000B
	s_add_u32 s62, 4, s47                                      // 000000007E64: 803E2F84
	s_cmp_lt_i32 s74, s62                                      // 000000007E68: BF043E4A
	s_cbranch_scc1 label_105F                                  // 000000007E6C: BF850043
	s_cmp_eq_i32 s74, s62                                      // 000000007E70: BF003E4A
	s_cbranch_scc1 label_1044                                  // 000000007E74: BF850026
	s_add_u32 s62, 8, s47                                      // 000000007E78: 803E2F88
	s_cmp_lt_i32 s74, s62                                      // 000000007E7C: BF043E4A
	s_cbranch_scc1 label_107F                                  // 000000007E80: BF85005E
	s_cmp_eq_i32 s74, s62                                      // 000000007E84: BF003E4A
	s_cbranch_scc1 label_1064                                  // 000000007E88: BF850041
	s_branch label_1084                                        // 000000007E8C: BF820060

0000000000007e90 <label_1024>:
	v_cndmask_b32_e64 v48, v48, v151, s[60:61]                 // 000000007E90: D1000030 00F32F30
	s_lshl_b32 s60, s60, 1                                     // 000000007E98: 8E3C813C
	s_lshl_b32 s61, s61, 1                                     // 000000007E9C: 8E3D813D
	s_and_b32 s60, 0xfffeffff, s60                             // 000000007EA0: 863C3CFF FFFEFFFF
	s_and_b32 s61, 0xfffeffff, s61                             // 000000007EA8: 863D3DFF FFFEFFFF
	v_cndmask_b32_e64 v49, v49, v151, s[60:61]                 // 000000007EB0: D1000031 00F32F31
	s_lshl_b32 s60, s60, 1                                     // 000000007EB8: 8E3C813C
	s_lshl_b32 s61, s61, 1                                     // 000000007EBC: 8E3D813D
	s_and_b32 s60, 0xfffeffff, s60                             // 000000007EC0: 863C3CFF FFFEFFFF
	s_and_b32 s61, 0xfffeffff, s61                             // 000000007EC8: 863D3DFF FFFEFFFF
	v_cndmask_b32_e64 v50, v50, v151, s[60:61]                 // 000000007ED0: D1000032 00F32F32
	s_lshl_b32 s60, s60, 1                                     // 000000007ED8: 8E3C813C
	s_lshl_b32 s61, s61, 1                                     // 000000007EDC: 8E3D813D
	s_and_b32 s60, 0xfffeffff, s60                             // 000000007EE0: 863C3CFF FFFEFFFF
	s_and_b32 s61, 0xfffeffff, s61                             // 000000007EE8: 863D3DFF FFFEFFFF
	v_cndmask_b32_e64 v51, v51, v151, s[60:61]                 // 000000007EF0: D1000033 00F32F33
	s_branch label_105F                                        // 000000007EF8: BF820020

0000000000007efc <label_103F>:
	v_mov_b32_e32 v48, v151                                    // 000000007EFC: 7E600397
	v_mov_b32_e32 v49, v151                                    // 000000007F00: 7E620397
	v_mov_b32_e32 v50, v151                                    // 000000007F04: 7E640397
	v_mov_b32_e32 v51, v151                                    // 000000007F08: 7E660397
	s_branch label_105F                                        // 000000007F0C: BF82001B

0000000000007f10 <label_1044>:
	v_cndmask_b32_e64 v52, v52, v151, s[60:61]                 // 000000007F10: D1000034 00F32F34
	s_lshl_b32 s60, s60, 1                                     // 000000007F18: 8E3C813C
	s_lshl_b32 s61, s61, 1                                     // 000000007F1C: 8E3D813D
	s_and_b32 s60, 0xfffeffff, s60                             // 000000007F20: 863C3CFF FFFEFFFF
	s_and_b32 s61, 0xfffeffff, s61                             // 000000007F28: 863D3DFF FFFEFFFF
	v_cndmask_b32_e64 v53, v53, v151, s[60:61]                 // 000000007F30: D1000035 00F32F35
	s_lshl_b32 s60, s60, 1                                     // 000000007F38: 8E3C813C
	s_lshl_b32 s61, s61, 1                                     // 000000007F3C: 8E3D813D
	s_and_b32 s60, 0xfffeffff, s60                             // 000000007F40: 863C3CFF FFFEFFFF
	s_and_b32 s61, 0xfffeffff, s61                             // 000000007F48: 863D3DFF FFFEFFFF
	v_cndmask_b32_e64 v54, v54, v151, s[60:61]                 // 000000007F50: D1000036 00F32F36
	s_lshl_b32 s60, s60, 1                                     // 000000007F58: 8E3C813C
	s_lshl_b32 s61, s61, 1                                     // 000000007F5C: 8E3D813D
	s_and_b32 s60, 0xfffeffff, s60                             // 000000007F60: 863C3CFF FFFEFFFF
	s_and_b32 s61, 0xfffeffff, s61                             // 000000007F68: 863D3DFF FFFEFFFF
	v_cndmask_b32_e64 v55, v55, v151, s[60:61]                 // 000000007F70: D1000037 00F32F37
	s_branch label_107F                                        // 000000007F78: BF820020

0000000000007f7c <label_105F>:
	v_mov_b32_e32 v52, v151                                    // 000000007F7C: 7E680397
	v_mov_b32_e32 v53, v151                                    // 000000007F80: 7E6A0397
	v_mov_b32_e32 v54, v151                                    // 000000007F84: 7E6C0397
	v_mov_b32_e32 v55, v151                                    // 000000007F88: 7E6E0397
	s_branch label_107F                                        // 000000007F8C: BF82001B

0000000000007f90 <label_1064>:
	v_cndmask_b32_e64 v56, v56, v151, s[60:61]                 // 000000007F90: D1000038 00F32F38
	s_lshl_b32 s60, s60, 1                                     // 000000007F98: 8E3C813C
	s_lshl_b32 s61, s61, 1                                     // 000000007F9C: 8E3D813D
	s_and_b32 s60, 0xfffeffff, s60                             // 000000007FA0: 863C3CFF FFFEFFFF
	s_and_b32 s61, 0xfffeffff, s61                             // 000000007FA8: 863D3DFF FFFEFFFF
	v_cndmask_b32_e64 v57, v57, v151, s[60:61]                 // 000000007FB0: D1000039 00F32F39
	s_lshl_b32 s60, s60, 1                                     // 000000007FB8: 8E3C813C
	s_lshl_b32 s61, s61, 1                                     // 000000007FBC: 8E3D813D
	s_and_b32 s60, 0xfffeffff, s60                             // 000000007FC0: 863C3CFF FFFEFFFF
	s_and_b32 s61, 0xfffeffff, s61                             // 000000007FC8: 863D3DFF FFFEFFFF
	v_cndmask_b32_e64 v58, v58, v151, s[60:61]                 // 000000007FD0: D100003A 00F32F3A
	s_lshl_b32 s60, s60, 1                                     // 000000007FD8: 8E3C813C
	s_lshl_b32 s61, s61, 1                                     // 000000007FDC: 8E3D813D
	s_and_b32 s60, 0xfffeffff, s60                             // 000000007FE0: 863C3CFF FFFEFFFF
	s_and_b32 s61, 0xfffeffff, s61                             // 000000007FE8: 863D3DFF FFFEFFFF
	v_cndmask_b32_e64 v59, v59, v151, s[60:61]                 // 000000007FF0: D100003B 00F32F3B
	s_branch label_1084                                        // 000000007FF8: BF820005

0000000000007ffc <label_107F>:
	v_mov_b32_e32 v56, v151                                    // 000000007FFC: 7E700397
	v_mov_b32_e32 v57, v151                                    // 000000008000: 7E720397
	v_mov_b32_e32 v58, v151                                    // 000000008004: 7E740397
	v_mov_b32_e32 v59, v151                                    // 000000008008: 7E760397
	s_branch label_1084                                        // 00000000800C: BF820000

0000000000008010 <label_1084>:
	s_addk_i32 s74, 0x1                                        // 000000008010: B74A0001
	s_waitcnt lgkmcnt(8)                                       // 000000008014: BF8CC87F
	s_barrier                                                  // 000000008018: BF8A0000
	v_mfma_f32_16x16x16_f16 v[72:75], v[92:93], a[96:97], 0    // 00000000801C: D3CD0048 1202C15C
	v_fma_f32 v48, v48, s57, -v124                             // 000000008024: D1CB0030 85F07330
	v_fma_f32 v49, v49, s57, -v125                             // 00000000802C: D1CB0031 85F47331
	v_fma_f32 v50, v50, s57, -v126                             // 000000008034: D1CB0032 85F87332
	v_mfma_f32_16x16x16_f16 v[72:75], v[94:95], a[98:99], v[72:75]// 00000000803C: D3CD0048 1522C55E
	ds_read_b128 a[144:147], v12 offset:4352                   // 000000008044: DBFE1100 9000000C
	ds_read_b128 a[148:151], v12 offset:4864                   // 00000000804C: DBFE1300 9400000C
	v_mfma_f32_16x16x16_f16 v[72:75], v[96:97], a[100:101], v[72:75]// 000000008054: D3CD0048 1522C960
	v_fma_f32 v51, v51, s57, -v127                             // 00000000805C: D1CB0033 85FC7333
	v_fma_f32 v52, v52, s57, -v124                             // 000000008064: D1CB0034 85F07334
	v_fma_f32 v53, v53, s57, -v125                             // 00000000806C: D1CB0035 85F47335
	v_mfma_f32_16x16x16_f16 v[72:75], v[98:99], a[102:103], v[72:75]// 000000008074: D3CD0048 1522CD62
	v_fma_f32 v54, v54, s57, -v126                             // 00000000807C: D1CB0036 85F87336
	v_fma_f32 v55, v55, s57, -v127                             // 000000008084: D1CB0037 85FC7337
	v_fma_f32 v56, v56, s57, -v124                             // 00000000808C: D1CB0038 85F07338
	v_mfma_f32_16x16x16_f16 v[72:75], v[100:101], a[104:105], v[72:75]// 000000008094: D3CD0048 1522D164
	v_fma_f32 v57, v57, s57, -v125                             // 00000000809C: D1CB0039 85F47339
	v_fma_f32 v58, v58, s57, -v126                             // 0000000080A4: D1CB003A 85F8733A
	v_fma_f32 v59, v59, s57, -v127                             // 0000000080AC: D1CB003B 85FC733B
	v_mfma_f32_16x16x16_f16 v[72:75], v[102:103], a[106:107], v[72:75]// 0000000080B4: D3CD0048 1522D566
	ds_read_b128 a[152:155], v12 offset:6528                   // 0000000080BC: DBFE1980 9800000C
	ds_read_b128 a[156:159], v12 offset:7040                   // 0000000080C4: DBFE1B80 9C00000C
	v_mfma_f32_16x16x16_f16 v[72:75], v[104:105], a[108:109], v[72:75]// 0000000080CC: D3CD0048 1522D968
	v_exp_f32_e32 v48, v48                                     // 0000000080D4: 7E604130
	v_mfma_f32_16x16x16_f16 v[72:75], v[106:107], a[110:111], v[72:75]// 0000000080D8: D3CD0048 1522DD6A
	v_exp_f32_e32 v49, v49                                     // 0000000080E0: 7E624131
	v_mfma_f32_16x16x16_f16 v[76:79], v[92:93], a[112:113], 0  // 0000000080E4: D3CD004C 1202E15C
	v_exp_f32_e32 v50, v50                                     // 0000000080EC: 7E644132
	v_mfma_f32_16x16x16_f16 v[76:79], v[94:95], a[114:115], v[76:79]// 0000000080F0: D3CD004C 1532E55E
	ds_read_b32 v136, v19 offset:24320                         // 0000000080F8: D86C5F00 88000013
	ds_read_b32 v137, v19 offset:24336                         // 000000008100: D86C5F10 89000013
	v_mfma_f32_16x16x16_f16 v[76:79], v[96:97], a[116:117], v[76:79]// 000000008108: D3CD004C 1532E960
	v_exp_f32_e32 v51, v51                                     // 000000008110: 7E664133
	v_mfma_f32_16x16x16_f16 v[76:79], v[98:99], a[118:119], v[76:79]// 000000008114: D3CD004C 1532ED62
	ds_read_b32 v138, v19 offset:26496                         // 00000000811C: D86C6780 8A000013
	ds_read_b32 v139, v19 offset:26512                         // 000000008124: D86C6790 8B000013
	v_mfma_f32_16x16x16_f16 v[76:79], v[100:101], a[120:121], v[76:79]// 00000000812C: D3CD004C 1532F164
	v_exp_f32_e32 v52, v52                                     // 000000008134: 7E684134
	v_mfma_f32_16x16x16_f16 v[76:79], v[102:103], a[122:123], v[76:79]// 000000008138: D3CD004C 1532F566
	v_exp_f32_e32 v53, v53                                     // 000000008140: 7E6A4135
	v_mfma_f32_16x16x16_f16 v[76:79], v[104:105], a[124:125], v[76:79]// 000000008144: D3CD004C 1532F968
	v_exp_f32_e32 v54, v54                                     // 00000000814C: 7E6C4136
	v_mfma_f32_16x16x16_f16 v[76:79], v[106:107], a[126:127], v[76:79]// 000000008150: D3CD004C 1532FD6A
	v_exp_f32_e32 v55, v55                                     // 000000008158: 7E6E4137
	v_mfma_f32_16x16x16_f16 v[80:83], v[92:93], a[128:129], 0  // 00000000815C: D3CD0050 1203015C
	v_exp_f32_e32 v56, v56                                     // 000000008164: 7E704138
	v_mfma_f32_16x16x16_f16 v[80:83], v[94:95], a[130:131], v[80:83]// 000000008168: D3CD0050 1543055E
	v_exp_f32_e32 v57, v57                                     // 000000008170: 7E724139
	v_mfma_f32_16x16x16_f16 v[80:83], v[96:97], a[132:133], v[80:83]// 000000008174: D3CD0050 15430960
	v_exp_f32_e32 v58, v58                                     // 00000000817C: 7E74413A
	v_mfma_f32_16x16x16_f16 v[80:83], v[98:99], a[134:135], v[80:83]// 000000008180: D3CD0050 15430D62
	v_exp_f32_e32 v59, v59                                     // 000000008188: 7E76413B
	v_mfma_f32_16x16x16_f16 v[80:83], v[100:101], a[136:137], v[80:83]// 00000000818C: D3CD0050 15431164
	v_cvt_pkrtz_f16_f32 v144, v48, v49                         // 000000008194: D2960090 00026330
	v_cvt_pkrtz_f16_f32 v145, v50, v51                         // 00000000819C: D2960091 00026732
	v_cvt_pkrtz_f16_f32 v146, v52, v53                         // 0000000081A4: D2960092 00026B34
	v_mfma_f32_16x16x16_f16 v[80:83], v[102:103], a[138:139], v[80:83]// 0000000081AC: D3CD0050 15431566
	v_cvt_pkrtz_f16_f32 v147, v54, v55                         // 0000000081B4: D2960093 00026F36
	v_cvt_pkrtz_f16_f32 v148, v56, v57                         // 0000000081BC: D2960094 00027338
	v_cvt_pkrtz_f16_f32 v149, v58, v59                         // 0000000081C4: D2960095 0002773A
	v_mfma_f32_16x16x16_f16 v[80:83], v[104:105], a[140:141], v[80:83]// 0000000081CC: D3CD0050 15431968
	s_add_u32 s32, s66, s32                                    // 0000000081D4: 80202042
	s_addc_u32 s33, 0, s33                                     // 0000000081D8: 82212180
	v_mfma_f32_16x16x16_f16 v[80:83], v[106:107], a[142:143], v[80:83]// 0000000081DC: D3CD0050 15431D6A
	s_waitcnt lgkmcnt(0)                                       // 0000000081E4: BF8CC07F
	s_barrier                                                  // 0000000081E8: BF8A0000
	v_mfma_f32_16x16x16_f16 v[152:155], v[108:109], v[144:145], v[152:155]// 0000000081EC: D3CD0098 0663216C
	v_subrev_f32_dpp v72, v150, v72 quad_perm:[0,0,0,0] row_mask:0xf bank_mask:0xf// 0000000081F4: 069090FA FF000096
	v_subrev_f32_dpp v73, v150, v73 quad_perm:[1,1,1,1] row_mask:0xf bank_mask:0xf// 0000000081FC: 069292FA FF005596
	v_subrev_f32_dpp v74, v150, v74 quad_perm:[2,2,2,2] row_mask:0xf bank_mask:0xf// 000000008204: 069494FA FF00AA96
	v_mfma_f32_16x16x16_f16 v[156:159], v[110:111], v[144:145], v[156:159]// 00000000820C: D3CD009C 0673216E
	v_subrev_f32_dpp v75, v150, v75 quad_perm:[3,3,3,3] row_mask:0xf bank_mask:0xf// 000000008214: 069696FA FF00FF96
	v_subrev_f32_dpp v76, v150, v76 quad_perm:[0,0,0,0] row_mask:0xf bank_mask:0xf// 00000000821C: 069898FA FF000096
	v_subrev_f32_dpp v77, v150, v77 quad_perm:[1,1,1,1] row_mask:0xf bank_mask:0xf// 000000008224: 069A9AFA FF005596
	v_mfma_f32_16x16x16_f16 v[160:163], v[112:113], v[144:145], v[160:163]// 00000000822C: D3CD00A0 06832170
	v_mul_f32_e32 v72, v48, v72                                // 000000008234: 0A909130
	v_mul_f32_e32 v73, v49, v73                                // 000000008238: 0A929331
	v_mul_f32_e32 v74, v50, v74                                // 00000000823C: 0A949532
	v_mfma_f32_16x16x16_f16 v[164:167], v[114:115], v[144:145], v[164:167]// 000000008240: D3CD00A4 06932172
	v_mul_f32_e32 v75, v51, v75                                // 000000008248: 0A969733
	v_mul_f32_e32 v76, v52, v76                                // 00000000824C: 0A989934
	v_mul_f32_e32 v77, v53, v77                                // 000000008250: 0A9A9B35
	v_mfma_f32_16x16x16_f16 v[168:171], v[116:117], v[144:145], v[168:171]// 000000008254: D3CD00A8 06A32174
	v_cvt_pkrtz_f16_f32 v72, v72, v73                          // 00000000825C: D2960048 00029348
	v_cvt_pkrtz_f16_f32 v73, v74, v75                          // 000000008264: D2960049 0002974A
	v_cvt_pkrtz_f16_f32 v74, v76, v77                          // 00000000826C: D296004A 00029B4C
	v_mfma_f32_16x16x16_f16 v[172:175], v[118:119], v[144:145], v[172:175]// 000000008274: D3CD00AC 06B32176
	v_mov_b32_dpp v16, v72 quad_perm:[1,0,3,2] row_mask:0xf bank_mask:0xf// 00000000827C: 7E2002FA FF00B148
	v_perm_b32 v48, v16, v72, v15                              // 000000008284: D1ED0030 043E9110
	v_mov_b32_dpp v16, v73 quad_perm:[1,0,3,2] row_mask:0xf bank_mask:0xf// 00000000828C: 7E2002FA FF00B149
	v_mfma_f32_16x16x16_f16 v[176:179], v[120:121], v[144:145], v[176:179]// 000000008294: D3CD00B0 06C32178
	ds_write_b32 v18, v48 offset:17408                         // 00000000829C: D81A4400 00003012
	v_mfma_f32_16x16x16_f16 v[180:183], v[122:123], v[144:145], v[180:183]// 0000000082A4: D3CD00B4 06D3217A
	v_perm_b32 v49, v16, v73, v15                              // 0000000082AC: D1ED0031 043E9310
	v_mov_b32_dpp v16, v74 quad_perm:[1,0,3,2] row_mask:0xf bank_mask:0xf// 0000000082B4: 7E2002FA FF00B14A
	v_perm_b32 v50, v16, v74, v15                              // 0000000082BC: D1ED0032 043E9510
	v_mfma_f32_16x16x16_f16 v[184:187], v[108:109], v[146:147], v[184:187]// 0000000082C4: D3CD00B8 06E3256C
	ds_write_b32 v18, v49 offset:17952                         // 0000000082CC: D81A4620 00003112
	v_mfma_f32_16x16x16_f16 v[188:191], v[110:111], v[146:147], v[188:191]// 0000000082D4: D3CD00BC 06F3256E
	v_subrev_f32_dpp v78, v150, v78 quad_perm:[2,2,2,2] row_mask:0xf bank_mask:0xf// 0000000082DC: 069C9CFA FF00AA96
	v_subrev_f32_dpp v79, v150, v79 quad_perm:[3,3,3,3] row_mask:0xf bank_mask:0xf// 0000000082E4: 069E9EFA FF00FF96
	v_subrev_f32_dpp v80, v150, v80 quad_perm:[0,0,0,0] row_mask:0xf bank_mask:0xf// 0000000082EC: 06A0A0FA FF000096
	v_mfma_f32_16x16x16_f16 v[192:195], v[112:113], v[146:147], v[192:195]// 0000000082F4: D3CD00C0 07032570
	ds_write_b32 v18, v50 offset:19712                         // 0000000082FC: D81A4D00 00003212
	v_mfma_f32_16x16x16_f16 v[196:199], v[114:115], v[146:147], v[196:199]// 000000008304: D3CD00C4 07132572
	v_subrev_f32_dpp v81, v150, v81 quad_perm:[1,1,1,1] row_mask:0xf bank_mask:0xf// 00000000830C: 06A2A2FA FF005596
	v_subrev_f32_dpp v82, v150, v82 quad_perm:[2,2,2,2] row_mask:0xf bank_mask:0xf// 000000008314: 06A4A4FA FF00AA96
	v_subrev_f32_dpp v83, v150, v83 quad_perm:[3,3,3,3] row_mask:0xf bank_mask:0xf// 00000000831C: 06A6A6FA FF00FF96
	v_mfma_f32_16x16x16_f16 v[200:203], v[116:117], v[146:147], v[200:203]// 000000008324: D3CD00C8 07232574
	v_mul_f32_e32 v78, v54, v78                                // 00000000832C: 0A9C9D36
	v_mul_f32_e32 v79, v55, v79                                // 000000008330: 0A9E9F37
	v_mul_f32_e32 v80, v56, v80                                // 000000008334: 0AA0A138
	v_mfma_f32_16x16x16_f16 v[204:207], v[118:119], v[146:147], v[204:207]// 000000008338: D3CD00CC 07332576
	v_mul_f32_e32 v81, v57, v81                                // 000000008340: 0AA2A339
	v_mul_f32_e32 v82, v58, v82                                // 000000008344: 0AA4A53A
	v_mul_f32_e32 v83, v59, v83                                // 000000008348: 0AA6A73B
	v_mfma_f32_16x16x16_f16 v[208:211], v[120:121], v[146:147], v[208:211]// 00000000834C: D3CD00D0 07432578
	v_cvt_pkrtz_f16_f32 v75, v78, v79                          // 000000008354: D296004B 00029F4E
	v_cvt_pkrtz_f16_f32 v76, v80, v81                          // 00000000835C: D296004C 0002A350
	v_cvt_pkrtz_f16_f32 v77, v82, v83                          // 000000008364: D296004D 0002A752
	v_mfma_f32_16x16x16_f16 v[212:215], v[122:123], v[146:147], v[212:215]// 00000000836C: D3CD00D4 0753257A
	v_mov_b32_dpp v16, v75 quad_perm:[1,0,3,2] row_mask:0xf bank_mask:0xf// 000000008374: 7E2002FA FF00B14B
	v_perm_b32 v51, v16, v75, v15                              // 00000000837C: D1ED0033 043E9710
	v_mov_b32_dpp v16, v76 quad_perm:[1,0,3,2] row_mask:0xf bank_mask:0xf// 000000008384: 7E2002FA FF00B14C
	v_mfma_f32_16x16x16_f16 v[216:219], v[108:109], v[148:149], v[216:219]// 00000000838C: D3CD00D8 0763296C
	ds_write_b32 v18, v51 offset:20256                         // 000000008394: D81A4F20 00003312
	v_mfma_f32_16x16x16_f16 v[220:223], v[110:111], v[148:149], v[220:223]// 00000000839C: D3CD00DC 0773296E
	v_perm_b32 v52, v16, v76, v15                              // 0000000083A4: D1ED0034 043E9910
	v_mov_b32_dpp v16, v77 quad_perm:[1,0,3,2] row_mask:0xf bank_mask:0xf// 0000000083AC: 7E2002FA FF00B14D
	v_perm_b32 v53, v16, v77, v15                              // 0000000083B4: D1ED0035 043E9B10
	v_mfma_f32_16x16x16_f16 v[224:227], v[112:113], v[148:149], v[224:227]// 0000000083BC: D3CD00E0 07832970
	ds_write_b32 v18, v52 offset:22016                         // 0000000083C4: D81A5600 00003412
	ds_write_b32 v18, v53 offset:22560                         // 0000000083CC: D81A5820 00003512
	v_mfma_f32_16x16x16_f16 v[228:231], v[114:115], v[148:149], v[228:231]// 0000000083D4: D3CD00E4 07932972
	v_mfma_f32_16x16x16_f16 v[232:235], v[116:117], v[148:149], v[232:235]// 0000000083DC: D3CD00E8 07A32974
	ds_write_b32 v13, v84 offset:4352                          // 0000000083E4: D81A1100 0000540D
	ds_write_b32 v13, v85 offset:5408                          // 0000000083EC: D81A1520 0000550D
	v_mfma_f32_16x16x16_f16 v[236:239], v[118:119], v[148:149], v[236:239]// 0000000083F4: D3CD00EC 07B32976
	v_mfma_f32_16x16x16_f16 v[240:243], v[120:121], v[148:149], v[240:243]// 0000000083FC: D3CD00F0 07C32978
	ds_write_b32 v13, v86 offset:4480                          // 000000008404: D81A1180 0000560D
	ds_write_b32 v13, v87 offset:5536                          // 00000000840C: D81A15A0 0000570D
	v_mfma_f32_16x16x16_f16 v[244:247], v[122:123], v[148:149], v[244:247]// 000000008414: D3CD00F4 07D3297A
	s_nop 0                                                    // 00000000841C: BF800000
	s_nop 0                                                    // 000000008420: BF800000
	s_nop 0                                                    // 000000008424: BF800000
	s_barrier                                                  // 000000008428: BF8A0000
	v_mfma_f32_16x16x16_f16 a[160:163], a[144:145], v[72:73], a[160:163]// 00000000842C: D3CD80A0 0E829190
	ds_read_b32 v124, v21 offset:50688                         // 000000008434: D86CC600 7C000015
	ds_read_b32 v150, v21 offset:50944                         // 00000000843C: D86CC700 96000015
	v_mfma_f32_16x16x16_f16 a[164:167], a[146:147], v[72:73], a[164:167]// 000000008444: D3CD80A4 0E929192
	buffer_atomic_pk_add_f16 v136, v7, s[32:35], 0 idxen       // 00000000844C: E1382000 80088807
	v_mfma_f32_16x16x16_f16 a[168:171], a[148:149], v[72:73], a[168:171]// 000000008454: D3CD80A8 0EA29194
	s_waitcnt lgkmcnt(6)                                       // 00000000845C: BF8CC67F
	s_barrier                                                  // 000000008460: BF8A0000
	v_mfma_f32_16x16x16_f16 a[172:175], a[150:151], v[72:73], a[172:175]// 000000008464: D3CD80AC 0EB29196
	v_mfma_f32_16x16x16_f16 a[176:179], a[152:153], v[72:73], a[176:179]// 00000000846C: D3CD80B0 0EC29198
	ds_read_b128 v[48:51], v17 offset:17408                    // 000000008474: D9FE4400 30000011
	v_mfma_f32_16x16x16_f16 a[180:183], a[154:155], v[72:73], a[180:183]// 00000000847C: D3CD80B4 0ED2919A
	v_mfma_f32_16x16x16_f16 a[184:187], a[156:157], v[72:73], a[184:187]// 000000008484: D3CD80B8 0EE2919C
	ds_read_b128 v[52:55], v17 offset:18560                    // 00000000848C: D9FE4880 34000011
	v_mfma_f32_16x16x16_f16 a[188:191], a[158:159], v[72:73], a[188:191]// 000000008494: D3CD80BC 0EF2919E
	buffer_atomic_pk_add_f16 v137, v8, s[32:35], 0 idxen       // 00000000849C: E1382000 80088908
	v_mfma_f32_16x16x16_f16 a[192:195], a[144:145], v[74:75], a[192:195]// 0000000084A4: D3CD80C0 0F029590
	ds_read_b128 v[56:59], v17 offset:19712                    // 0000000084AC: D9FE4D00 38000011
	v_mfma_f32_16x16x16_f16 a[196:199], a[146:147], v[74:75], a[196:199]// 0000000084B4: D3CD80C4 0F129592
	v_mfma_f32_16x16x16_f16 a[200:203], a[148:149], v[74:75], a[200:203]// 0000000084BC: D3CD80C8 0F229594
	ds_read_b128 v[60:63], v17 offset:20864                    // 0000000084C4: D9FE5180 3C000011
	v_mfma_f32_16x16x16_f16 a[204:207], a[150:151], v[74:75], a[204:207]// 0000000084CC: D3CD80CC 0F329596
	v_mfma_f32_16x16x16_f16 a[208:211], a[152:153], v[74:75], a[208:211]// 0000000084D4: D3CD80D0 0F429598
	ds_read_b128 v[64:67], v17 offset:22016                    // 0000000084DC: D9FE5600 40000011
	v_mfma_f32_16x16x16_f16 a[212:215], a[154:155], v[74:75], a[212:215]// 0000000084E4: D3CD80D4 0F52959A
	buffer_atomic_pk_add_f16 v138, v7, s[32:35], 0 idxen offset:128// 0000000084EC: E1382080 80088A07
	v_mfma_f32_16x16x16_f16 a[216:219], a[156:157], v[74:75], a[216:219]// 0000000084F4: D3CD80D8 0F62959C
	ds_read_b128 v[68:71], v17 offset:23168                    // 0000000084FC: D9FE5A80 44000011
	v_mfma_f32_16x16x16_f16 a[220:223], a[158:159], v[74:75], a[220:223]// 000000008504: D3CD80DC 0F72959E
	v_mfma_f32_16x16x16_f16 a[224:227], a[144:145], v[76:77], a[224:227]// 00000000850C: D3CD80E0 0F829990
	ds_write_b32 v13, v88 offset:13056                         // 000000008514: D81A3300 0000580D
	v_mfma_f32_16x16x16_f16 a[228:231], a[146:147], v[76:77], a[228:231]// 00000000851C: D3CD80E4 0F929992
	v_mfma_f32_16x16x16_f16 a[232:235], a[148:149], v[76:77], a[232:235]// 000000008524: D3CD80E8 0FA29994
	ds_write_b32 v13, v89 offset:14112                         // 00000000852C: D81A3720 0000590D
	v_mfma_f32_16x16x16_f16 a[236:239], a[150:151], v[76:77], a[236:239]// 000000008534: D3CD80EC 0FB29996
	buffer_atomic_pk_add_f16 v139, v8, s[32:35], 0 idxen offset:128// 00000000853C: E1382080 80088B08
	v_mfma_f32_16x16x16_f16 a[240:243], a[152:153], v[76:77], a[240:243]// 000000008544: D3CD80F0 0FC29998
	ds_write_b32 v13, v90 offset:13184                         // 00000000854C: D81A3380 00005A0D
	v_mfma_f32_16x16x16_f16 a[244:247], a[154:155], v[76:77], a[244:247]// 000000008554: D3CD80F4 0FD2999A
	v_mfma_f32_16x16x16_f16 a[248:251], a[156:157], v[76:77], a[248:251]// 00000000855C: D3CD80F8 0FE2999C
	ds_write_b32 v13, v91 offset:14240                         // 000000008564: D81A37A0 00005B0D
	v_mfma_f32_16x16x16_f16 a[252:255], a[158:159], v[76:77], a[252:255]// 00000000856C: D3CD80FC 0FF2999E
	s_waitcnt vmcnt(4) lgkmcnt(4)                              // 000000008574: BF8C0474
	s_barrier                                                  // 000000008578: BF8A0000
	v_mfma_f32_16x16x16_f16 v[128:131], a[48:49], v[48:49], 0  // 00000000857C: D3CD0080 0A026130
	ds_read_b128 a[144:147], v10                               // 000000008584: DBFE0000 9000000A
	buffer_load_dword v32, v1, s[8:11], 0 idxen                // 00000000858C: E0502000 80022001
	v_mfma_f32_16x16x16_f16 v[128:131], a[52:53], v[50:51], v[128:131]// 000000008594: D3CD0080 0E026534
	v_mul_f32_e32 v124, s49, v124                              // 00000000859C: 0AF8F831
	s_nop 0                                                    // 0000000085A0: BF800000
	v_mfma_f32_16x16x16_f16 v[128:131], a[56:57], v[52:53], v[128:131]// 0000000085A4: D3CD0080 0E026938
	ds_read_b128 a[148:151], v10 offset:512                    // 0000000085AC: DBFE0200 9400000A
	buffer_load_dword v33, v2, s[8:11], 0 idxen                // 0000000085B4: E0502000 80022102
	v_mfma_f32_16x16x16_f16 v[128:131], a[60:61], v[54:55], v[128:131]// 0000000085BC: D3CD0080 0E026D3C
	v_mfma_f32_16x16x16_f16 v[128:131], a[64:65], v[56:57], v[128:131]// 0000000085C4: D3CD0080 0E027140
	ds_read_b128 a[152:155], v10 offset:2176                   // 0000000085CC: DBFE0880 9800000A
	buffer_load_dword v34, v3, s[8:11], 0 idxen                // 0000000085D4: E0502000 80022203
	v_mfma_f32_16x16x16_f16 v[128:131], a[68:69], v[58:59], v[128:131]// 0000000085DC: D3CD0080 0E027544
	v_perm_b32 v84, v37, v36, s63                              // 0000000085E4: D1ED0054 00FE4925
	v_perm_b32 v85, v37, v36, s64                              // 0000000085EC: D1ED0055 01024925
	v_mfma_f32_16x16x16_f16 v[128:131], a[72:73], v[60:61], v[128:131]// 0000000085F4: D3CD0080 0E027948
	ds_read_b128 a[156:159], v10 offset:2688                   // 0000000085FC: DBFE0A80 9C00000A
	buffer_load_dword v35, v4, s[8:11], 0 idxen                // 000000008604: E0502000 80022304
	v_mfma_f32_16x16x16_f16 v[128:131], a[76:77], v[62:63], v[128:131]// 00000000860C: D3CD0080 0E027D4C
	v_perm_b32 v86, v39, v38, s63                              // 000000008614: D1ED0056 00FE4D27
	v_perm_b32 v87, v39, v38, s64                              // 00000000861C: D1ED0057 01024D27
	v_mfma_f32_16x16x16_f16 v[128:131], a[80:81], v[64:65], v[128:131]// 000000008624: D3CD0080 0E028150
	ds_read_b128 v[92:95], v10 offset:8704                     // 00000000862C: D9FE2200 5C00000A
	buffer_load_dword v40, v1, s[20:23], 0 idxen               // 000000008634: E0502000 80052801
	v_mfma_f32_16x16x16_f16 v[128:131], a[84:85], v[66:67], v[128:131]// 00000000863C: D3CD0080 0E028554
	v_perm_b32 v88, v45, v44, s63                              // 000000008644: D1ED0058 00FE592D
	v_perm_b32 v89, v45, v44, s64                              // 00000000864C: D1ED0059 0102592D
	v_mfma_f32_16x16x16_f16 v[128:131], a[88:89], v[68:69], v[128:131]// 000000008654: D3CD0080 0E028958
	ds_read_b128 v[96:99], v10 offset:9216                     // 00000000865C: D9FE2400 6000000A
	buffer_load_dword v41, v2, s[20:23], 0 idxen               // 000000008664: E0502000 80052902
	v_mfma_f32_16x16x16_f16 v[128:131], a[92:93], v[70:71], v[128:131]// 00000000866C: D3CD0080 0E028D5C
	v_perm_b32 v90, v47, v46, s63                              // 000000008674: D1ED005A 00FE5D2F
	v_perm_b32 v91, v47, v46, s64                              // 00000000867C: D1ED005B 01025D2F
	v_mfma_f32_16x16x16_f16 v[132:135], a[50:51], v[48:49], 0  // 000000008684: D3CD0084 0A026132
	ds_read_b128 v[100:103], v10 offset:10880                  // 00000000868C: D9FE2A80 6400000A
	buffer_load_dword v42, v3, s[20:23], 0 idxen               // 000000008694: E0502000 80052A03
	v_mfma_f32_16x16x16_f16 v[132:135], a[54:55], v[50:51], v[132:135]// 00000000869C: D3CD0084 0E126536
	v_mov_b32_dpp v127, v124 quad_perm:[3,3,3,3] row_mask:0xf bank_mask:0xf// 0000000086A4: 7EFE02FA FF00FF7C
	v_mov_b32_dpp v126, v124 quad_perm:[2,2,2,2] row_mask:0xf bank_mask:0xf// 0000000086AC: 7EFC02FA FF00AA7C
	v_mfma_f32_16x16x16_f16 v[132:135], a[58:59], v[52:53], v[132:135]// 0000000086B4: D3CD0084 0E12693A
	ds_read_b128 v[104:107], v10 offset:11392                  // 0000000086BC: D9FE2C80 6800000A
	buffer_load_dword v43, v4, s[20:23], 0 idxen               // 0000000086C4: E0502000 80052B04
	v_mfma_f32_16x16x16_f16 v[132:135], a[62:63], v[54:55], v[132:135]// 0000000086CC: D3CD0084 0E126D3E
	v_mov_b32_dpp v125, v124 quad_perm:[1,1,1,1] row_mask:0xf bank_mask:0xf// 0000000086D4: 7EFA02FA FF00557C
	v_mov_b32_dpp v124, v124 quad_perm:[0,0,0,0] row_mask:0xf bank_mask:0xf// 0000000086DC: 7EF802FA FF00007C
	s_add_u32 s60, 64, s59                                     // 0000000086E4: 803C3BC0
	v_mfma_f32_16x16x16_f16 v[132:135], a[66:67], v[56:57], v[132:135]// 0000000086E8: D3CD0084 0E127142
	buffer_load_dword v9, s[24:27], 0 idxen lds                // 0000000086F0: E0512000 80060009
	v_mfma_f32_16x16x16_f16 v[132:135], a[70:71], v[58:59], v[132:135]// 0000000086F8: D3CD0084 0E127546
	s_cmp_lt_u32 s60, s58                                      // 000000008700: BF0A3A3C
	s_cselect_b32 s68, s68, 0                                  // 000000008704: 85448044
	s_cselect_b32 s69, s69, 0                                  // 000000008708: 85458045
	v_mfma_f32_16x16x16_f16 v[132:135], a[74:75], v[60:61], v[132:135]// 00000000870C: D3CD0084 0E12794A
	s_add_u32 s8, s68, s8                                      // 000000008714: 80080844
	s_addc_u32 s9, 0, s9                                       // 000000008718: 82090980
	v_mfma_f32_16x16x16_f16 v[132:135], a[78:79], v[62:63], v[132:135]// 00000000871C: D3CD0084 0E127D4E
	s_add_u32 s20, s68, s20                                    // 000000008724: 80141444
	s_addc_u32 s21, 0, s21                                     // 000000008728: 82151580
	v_mfma_f32_16x16x16_f16 v[132:135], a[82:83], v[64:65], v[132:135]// 00000000872C: D3CD0084 0E128152
	s_mov_b32 m0, s79                                          // 000000008734: BEFC004F
	v_add_u32_e32 v9, s69, v9                                  // 000000008738: 68121245
	v_mfma_f32_16x16x16_f16 v[132:135], a[86:87], v[66:67], v[132:135]// 00000000873C: D3CD0084 0E128556
	s_cmp_ge_u32 s59, s73                                      // 000000008744: BF09493B
	s_cselect_b32 s66, s67, s66                                // 000000008748: 85424243
	v_mfma_f32_16x16x16_f16 v[132:135], a[90:91], v[68:69], v[132:135]// 00000000874C: D3CD0084 0E12895A
	s_addk_i32 s59, 0x10                                       // 000000008754: B73B0010
	s_nop 0                                                    // 000000008758: BF800000
	s_cmp_lt_i32 s59, s58                                      // 00000000875C: BF043A3B
	v_mfma_f32_16x16x16_f16 v[132:135], a[94:95], v[70:71], v[132:135]// 000000008760: D3CD0084 0E128D5E
	s_cbranch_scc0 label_0CFC                                  // 000000008768: BF84FAA1
	s_branch label_0D03                                        // 00000000876C: BF82FAA7

0000000000008770 <label_125C>:
	s_add_u32 s32, s66, s32                                    // 000000008770: 80202042
	s_addc_u32 s33, 0, s33                                     // 000000008774: 82212180
	v_lshrrev_b32_e32 v28, 5, v0                               // 000000008778: 20380085
	v_mul_i32_i24_e32 v25, 0x42, v28                           // 00000000877C: 0C3238FF 00000042
	v_and_b32_e32 v28, 31, v0                                  // 000000008784: 2638009F
	v_mul_i32_i24_e32 v29, 2, v28                              // 000000008788: 0C3A3882
	v_add_u32_e32 v25, v29, v25                                // 00000000878C: 6832331D
	s_mul_i32 s60, s47, 0x420                                  // 000000008790: 923CFF2F 00000420
	v_add_u32_e32 v25, s60, v25                                // 000000008798: 6832323C
	v_lshlrev_b32_e32 v25, 2, v25                              // 00000000879C: 24323282
	v_mul_f32_e32 v128, s48, v128                              // 0000000087A0: 0B010030
	v_mul_f32_e32 v129, s48, v129                              // 0000000087A4: 0B030230
	v_mul_f32_e32 v130, s48, v130                              // 0000000087A8: 0B050430
	v_mul_f32_e32 v131, s48, v131                              // 0000000087AC: 0B070630
	v_mul_f32_e32 v132, s48, v132                              // 0000000087B0: 0B090830
	v_mul_f32_e32 v133, s48, v133                              // 0000000087B4: 0B0B0A30
	v_mul_f32_e32 v134, s48, v134                              // 0000000087B8: 0B0D0C30
	v_mul_f32_e32 v135, s48, v135                              // 0000000087BC: 0B0F0E30
	v_cvt_pkrtz_f16_f32 v128, v128, v129                       // 0000000087C0: D2960080 00030380
	v_cvt_pkrtz_f16_f32 v129, v130, v131                       // 0000000087C8: D2960081 00030782
	v_cvt_pkrtz_f16_f32 v130, v132, v133                       // 0000000087D0: D2960082 00030B84
	v_cvt_pkrtz_f16_f32 v131, v134, v135                       // 0000000087D8: D2960083 00030F86
	ds_write_b64 v20, v[128:129] offset:24320                  // 0000000087E0: D89A5F00 00008014
	ds_write_b64 v20, v[130:131] offset:24864                  // 0000000087E8: D89A6120 00008214
	s_waitcnt lgkmcnt(0)                                       // 0000000087F0: BF8CC07F
	s_barrier                                                  // 0000000087F4: BF8A0000
	ds_read_b32 v136, v19 offset:24320                         // 0000000087F8: D86C5F00 88000013
	ds_read_b32 v137, v19 offset:24336                         // 000000008800: D86C5F10 89000013
	ds_read_b32 v138, v19 offset:26496                         // 000000008808: D86C6780 8A000013
	ds_read_b32 v139, v19 offset:26512                         // 000000008810: D86C6790 8B000013
	s_waitcnt lgkmcnt(0)                                       // 000000008818: BF8CC07F
	s_barrier                                                  // 00000000881C: BF8A0000
	buffer_atomic_pk_add_f16 v136, v7, s[32:35], 0 idxen       // 000000008820: E1382000 80088807
	buffer_atomic_pk_add_f16 v137, v8, s[32:35], 0 idxen       // 000000008828: E1382000 80088908
	buffer_atomic_pk_add_f16 v138, v7, s[32:35], 0 idxen offset:128// 000000008830: E1382080 80088A07
	buffer_atomic_pk_add_f16 v139, v8, s[32:35], 0 idxen offset:128// 000000008838: E1382080 80088B08
	v_lshrrev_b32_e32 v28, 4, v0                               // 000000008840: 20380084
	v_mul_i32_i24_e32 v24, 2, v28                              // 000000008844: 0C303882
	v_and_b32_e32 v28, 15, v0                                  // 000000008848: 2638008F
	v_mul_i32_i24_e32 v29, 0x42, v28                           // 00000000884C: 0C3A38FF 00000042
	v_add_u32_e32 v24, v29, v24                                // 000000008854: 6830311D
	s_mul_i32 s60, s47, 0x420                                  // 000000008858: 923CFF2F 00000420
	v_add_u32_e32 v24, s60, v24                                // 000000008860: 6830303C
	v_lshlrev_b32_e32 v24, 2, v24                              // 000000008864: 24303082
	v_accvgpr_read_b32 v28, a160                               // 000000008868: D3D8401C 180001A0
	v_accvgpr_read_b32 v29, a161                               // 000000008870: D3D8401D 180001A1
	v_mul_f32_e32 v28, s48, v28                                // 000000008878: 0A383830
	v_mul_f32_e32 v29, s48, v29                                // 00000000887C: 0A3A3A30
	v_cvt_pkrtz_f16_f32 v48, v28, v29                          // 000000008880: D2960030 00023B1C
	v_accvgpr_read_b32 v28, a162                               // 000000008888: D3D8401C 180001A2
	v_accvgpr_read_b32 v29, a163                               // 000000008890: D3D8401D 180001A3
	v_mul_f32_e32 v28, s48, v28                                // 000000008898: 0A383830
	v_mul_f32_e32 v29, s48, v29                                // 00000000889C: 0A3A3A30
	v_cvt_pkrtz_f16_f32 v49, v28, v29                          // 0000000088A0: D2960031 00023B1C
	v_accvgpr_read_b32 v28, a164                               // 0000000088A8: D3D8401C 180001A4
	v_accvgpr_read_b32 v29, a165                               // 0000000088B0: D3D8401D 180001A5
	v_mul_f32_e32 v28, s48, v28                                // 0000000088B8: 0A383830
	v_mul_f32_e32 v29, s48, v29                                // 0000000088BC: 0A3A3A30
	v_cvt_pkrtz_f16_f32 v50, v28, v29                          // 0000000088C0: D2960032 00023B1C
	v_accvgpr_read_b32 v28, a166                               // 0000000088C8: D3D8401C 180001A6
	v_accvgpr_read_b32 v29, a167                               // 0000000088D0: D3D8401D 180001A7
	v_mul_f32_e32 v28, s48, v28                                // 0000000088D8: 0A383830
	v_mul_f32_e32 v29, s48, v29                                // 0000000088DC: 0A3A3A30
	v_cvt_pkrtz_f16_f32 v51, v28, v29                          // 0000000088E0: D2960033 00023B1C
	v_accvgpr_read_b32 v28, a168                               // 0000000088E8: D3D8401C 180001A8
	v_accvgpr_read_b32 v29, a169                               // 0000000088F0: D3D8401D 180001A9
	v_mul_f32_e32 v28, s48, v28                                // 0000000088F8: 0A383830
	v_mul_f32_e32 v29, s48, v29                                // 0000000088FC: 0A3A3A30
	v_cvt_pkrtz_f16_f32 v52, v28, v29                          // 000000008900: D2960034 00023B1C
	v_accvgpr_read_b32 v28, a170                               // 000000008908: D3D8401C 180001AA
	v_accvgpr_read_b32 v29, a171                               // 000000008910: D3D8401D 180001AB
	v_mul_f32_e32 v28, s48, v28                                // 000000008918: 0A383830
	v_mul_f32_e32 v29, s48, v29                                // 00000000891C: 0A3A3A30
	v_cvt_pkrtz_f16_f32 v53, v28, v29                          // 000000008920: D2960035 00023B1C
	v_accvgpr_read_b32 v28, a172                               // 000000008928: D3D8401C 180001AC
	v_accvgpr_read_b32 v29, a173                               // 000000008930: D3D8401D 180001AD
	v_mul_f32_e32 v28, s48, v28                                // 000000008938: 0A383830
	v_mul_f32_e32 v29, s48, v29                                // 00000000893C: 0A3A3A30
	v_cvt_pkrtz_f16_f32 v54, v28, v29                          // 000000008940: D2960036 00023B1C
	v_accvgpr_read_b32 v28, a174                               // 000000008948: D3D8401C 180001AE
	v_accvgpr_read_b32 v29, a175                               // 000000008950: D3D8401D 180001AF
	v_mul_f32_e32 v28, s48, v28                                // 000000008958: 0A383830
	v_mul_f32_e32 v29, s48, v29                                // 00000000895C: 0A3A3A30
	v_cvt_pkrtz_f16_f32 v55, v28, v29                          // 000000008960: D2960037 00023B1C
	v_accvgpr_read_b32 v28, a176                               // 000000008968: D3D8401C 180001B0
	v_accvgpr_read_b32 v29, a177                               // 000000008970: D3D8401D 180001B1
	v_mul_f32_e32 v28, s48, v28                                // 000000008978: 0A383830
	v_mul_f32_e32 v29, s48, v29                                // 00000000897C: 0A3A3A30
	v_cvt_pkrtz_f16_f32 v56, v28, v29                          // 000000008980: D2960038 00023B1C
	v_accvgpr_read_b32 v28, a178                               // 000000008988: D3D8401C 180001B2
	v_accvgpr_read_b32 v29, a179                               // 000000008990: D3D8401D 180001B3
	v_mul_f32_e32 v28, s48, v28                                // 000000008998: 0A383830
	v_mul_f32_e32 v29, s48, v29                                // 00000000899C: 0A3A3A30
	v_cvt_pkrtz_f16_f32 v57, v28, v29                          // 0000000089A0: D2960039 00023B1C
	v_accvgpr_read_b32 v28, a180                               // 0000000089A8: D3D8401C 180001B4
	v_accvgpr_read_b32 v29, a181                               // 0000000089B0: D3D8401D 180001B5
	v_mul_f32_e32 v28, s48, v28                                // 0000000089B8: 0A383830
	v_mul_f32_e32 v29, s48, v29                                // 0000000089BC: 0A3A3A30
	v_cvt_pkrtz_f16_f32 v58, v28, v29                          // 0000000089C0: D296003A 00023B1C
	v_accvgpr_read_b32 v28, a182                               // 0000000089C8: D3D8401C 180001B6
	v_accvgpr_read_b32 v29, a183                               // 0000000089D0: D3D8401D 180001B7
	v_mul_f32_e32 v28, s48, v28                                // 0000000089D8: 0A383830
	v_mul_f32_e32 v29, s48, v29                                // 0000000089DC: 0A3A3A30
	v_cvt_pkrtz_f16_f32 v59, v28, v29                          // 0000000089E0: D296003B 00023B1C
	v_accvgpr_read_b32 v28, a184                               // 0000000089E8: D3D8401C 180001B8
	v_accvgpr_read_b32 v29, a185                               // 0000000089F0: D3D8401D 180001B9
	v_mul_f32_e32 v28, s48, v28                                // 0000000089F8: 0A383830
	v_mul_f32_e32 v29, s48, v29                                // 0000000089FC: 0A3A3A30
	v_cvt_pkrtz_f16_f32 v60, v28, v29                          // 000000008A00: D296003C 00023B1C
	v_accvgpr_read_b32 v28, a186                               // 000000008A08: D3D8401C 180001BA
	v_accvgpr_read_b32 v29, a187                               // 000000008A10: D3D8401D 180001BB
	v_mul_f32_e32 v28, s48, v28                                // 000000008A18: 0A383830
	v_mul_f32_e32 v29, s48, v29                                // 000000008A1C: 0A3A3A30
	v_cvt_pkrtz_f16_f32 v61, v28, v29                          // 000000008A20: D296003D 00023B1C
	v_accvgpr_read_b32 v28, a188                               // 000000008A28: D3D8401C 180001BC
	v_accvgpr_read_b32 v29, a189                               // 000000008A30: D3D8401D 180001BD
	v_mul_f32_e32 v28, s48, v28                                // 000000008A38: 0A383830
	v_mul_f32_e32 v29, s48, v29                                // 000000008A3C: 0A3A3A30
	v_cvt_pkrtz_f16_f32 v62, v28, v29                          // 000000008A40: D296003E 00023B1C
	v_accvgpr_read_b32 v28, a190                               // 000000008A48: D3D8401C 180001BE
	v_accvgpr_read_b32 v29, a191                               // 000000008A50: D3D8401D 180001BF
	v_mul_f32_e32 v28, s48, v28                                // 000000008A58: 0A383830
	v_mul_f32_e32 v29, s48, v29                                // 000000008A5C: 0A3A3A30
	v_cvt_pkrtz_f16_f32 v63, v28, v29                          // 000000008A60: D296003F 00023B1C
	ds_write_b64 v25, v[48:49]                                 // 000000008A68: D89A0000 00003019
	ds_write_b64 v25, v[50:51] offset:528                      // 000000008A70: D89A0210 00003219
	ds_write_b64 v25, v[52:53] offset:1056                     // 000000008A78: D89A0420 00003419
	ds_write_b64 v25, v[54:55] offset:1584                     // 000000008A80: D89A0630 00003619
	ds_write_b64 v25, v[56:57] offset:2112                     // 000000008A88: D89A0840 00003819
	ds_write_b64 v25, v[58:59] offset:2640                     // 000000008A90: D89A0A50 00003A19
	ds_write_b64 v25, v[60:61] offset:3168                     // 000000008A98: D89A0C60 00003C19
	ds_write_b64 v25, v[62:63] offset:3696                     // 000000008AA0: D89A0E70 00003E19
	s_waitcnt lgkmcnt(0)                                       // 000000008AA8: BF8CC07F
	s_barrier                                                  // 000000008AAC: BF8A0000
	ds_read_b64 v[48:49], v24                                  // 000000008AB0: D8EC0000 30000018
	ds_read_b64 v[50:51], v24 offset:128                       // 000000008AB8: D8EC0080 32000018
	ds_read_b64 v[52:53], v24 offset:32                        // 000000008AC0: D8EC0020 34000018
	ds_read_b64 v[54:55], v24 offset:160                       // 000000008AC8: D8EC00A0 36000018
	ds_read_b64 v[56:57], v24 offset:64                        // 000000008AD0: D8EC0040 38000018
	ds_read_b64 v[58:59], v24 offset:192                       // 000000008AD8: D8EC00C0 3A000018
	ds_read_b64 v[60:61], v24 offset:96                        // 000000008AE0: D8EC0060 3C000018
	ds_read_b64 v[62:63], v24 offset:224                       // 000000008AE8: D8EC00E0 3E000018
	s_waitcnt lgkmcnt(0)                                       // 000000008AF0: BF8CC07F
	buffer_store_dwordx4 v[48:51], v5, s[36:39], 0 idxen       // 000000008AF4: E07C2000 80093005
	v_add_u32_e32 v5, s46, v5                                  // 000000008AFC: 680A0A2E
	buffer_store_dwordx4 v[52:55], v5, s[36:39], 0 idxen       // 000000008B00: E07C2000 80093405
	v_add_u32_e32 v5, s46, v5                                  // 000000008B08: 680A0A2E
	buffer_store_dwordx4 v[56:59], v5, s[36:39], 0 idxen       // 000000008B0C: E07C2000 80093805
	v_add_u32_e32 v5, s46, v5                                  // 000000008B14: 680A0A2E
	buffer_store_dwordx4 v[60:63], v5, s[36:39], 0 idxen       // 000000008B18: E07C2000 80093C05
	v_add_u32_e32 v5, s46, v5                                  // 000000008B20: 680A0A2E
	s_mul_i32 s60, 12, s46                                     // 000000008B24: 923C2E8C
	v_add_u32_e32 v5, s60, v5                                  // 000000008B28: 680A0A3C
	s_barrier                                                  // 000000008B2C: BF8A0000
	s_cmp_ge_i32 1, s72                                        // 000000008B30: BF034881
	s_cbranch_scc1 label_14B6                                  // 000000008B34: BF850168
	v_accvgpr_read_b32 v28, a192                               // 000000008B38: D3D8401C 180001C0
	v_accvgpr_read_b32 v29, a193                               // 000000008B40: D3D8401D 180001C1
	v_mul_f32_e32 v28, s48, v28                                // 000000008B48: 0A383830
	v_mul_f32_e32 v29, s48, v29                                // 000000008B4C: 0A3A3A30
	v_cvt_pkrtz_f16_f32 v64, v28, v29                          // 000000008B50: D2960040 00023B1C
	v_accvgpr_read_b32 v28, a194                               // 000000008B58: D3D8401C 180001C2
	v_accvgpr_read_b32 v29, a195                               // 000000008B60: D3D8401D 180001C3
	v_mul_f32_e32 v28, s48, v28                                // 000000008B68: 0A383830
	v_mul_f32_e32 v29, s48, v29                                // 000000008B6C: 0A3A3A30
	v_cvt_pkrtz_f16_f32 v65, v28, v29                          // 000000008B70: D2960041 00023B1C
	v_accvgpr_read_b32 v28, a196                               // 000000008B78: D3D8401C 180001C4
	v_accvgpr_read_b32 v29, a197                               // 000000008B80: D3D8401D 180001C5
	v_mul_f32_e32 v28, s48, v28                                // 000000008B88: 0A383830
	v_mul_f32_e32 v29, s48, v29                                // 000000008B8C: 0A3A3A30
	v_cvt_pkrtz_f16_f32 v66, v28, v29                          // 000000008B90: D2960042 00023B1C
	v_accvgpr_read_b32 v28, a198                               // 000000008B98: D3D8401C 180001C6
	v_accvgpr_read_b32 v29, a199                               // 000000008BA0: D3D8401D 180001C7
	v_mul_f32_e32 v28, s48, v28                                // 000000008BA8: 0A383830
	v_mul_f32_e32 v29, s48, v29                                // 000000008BAC: 0A3A3A30
	v_cvt_pkrtz_f16_f32 v67, v28, v29                          // 000000008BB0: D2960043 00023B1C
	v_accvgpr_read_b32 v28, a200                               // 000000008BB8: D3D8401C 180001C8
	v_accvgpr_read_b32 v29, a201                               // 000000008BC0: D3D8401D 180001C9
	v_mul_f32_e32 v28, s48, v28                                // 000000008BC8: 0A383830
	v_mul_f32_e32 v29, s48, v29                                // 000000008BCC: 0A3A3A30
	v_cvt_pkrtz_f16_f32 v68, v28, v29                          // 000000008BD0: D2960044 00023B1C
	v_accvgpr_read_b32 v28, a202                               // 000000008BD8: D3D8401C 180001CA
	v_accvgpr_read_b32 v29, a203                               // 000000008BE0: D3D8401D 180001CB
	v_mul_f32_e32 v28, s48, v28                                // 000000008BE8: 0A383830
	v_mul_f32_e32 v29, s48, v29                                // 000000008BEC: 0A3A3A30
	v_cvt_pkrtz_f16_f32 v69, v28, v29                          // 000000008BF0: D2960045 00023B1C
	v_accvgpr_read_b32 v28, a204                               // 000000008BF8: D3D8401C 180001CC
	v_accvgpr_read_b32 v29, a205                               // 000000008C00: D3D8401D 180001CD
	v_mul_f32_e32 v28, s48, v28                                // 000000008C08: 0A383830
	v_mul_f32_e32 v29, s48, v29                                // 000000008C0C: 0A3A3A30
	v_cvt_pkrtz_f16_f32 v70, v28, v29                          // 000000008C10: D2960046 00023B1C
	v_accvgpr_read_b32 v28, a206                               // 000000008C18: D3D8401C 180001CE
	v_accvgpr_read_b32 v29, a207                               // 000000008C20: D3D8401D 180001CF
	v_mul_f32_e32 v28, s48, v28                                // 000000008C28: 0A383830
	v_mul_f32_e32 v29, s48, v29                                // 000000008C2C: 0A3A3A30
	v_cvt_pkrtz_f16_f32 v71, v28, v29                          // 000000008C30: D2960047 00023B1C
	v_accvgpr_read_b32 v28, a208                               // 000000008C38: D3D8401C 180001D0
	v_accvgpr_read_b32 v29, a209                               // 000000008C40: D3D8401D 180001D1
	v_mul_f32_e32 v28, s48, v28                                // 000000008C48: 0A383830
	v_mul_f32_e32 v29, s48, v29                                // 000000008C4C: 0A3A3A30
	v_cvt_pkrtz_f16_f32 v72, v28, v29                          // 000000008C50: D2960048 00023B1C
	v_accvgpr_read_b32 v28, a210                               // 000000008C58: D3D8401C 180001D2
	v_accvgpr_read_b32 v29, a211                               // 000000008C60: D3D8401D 180001D3
	v_mul_f32_e32 v28, s48, v28                                // 000000008C68: 0A383830
	v_mul_f32_e32 v29, s48, v29                                // 000000008C6C: 0A3A3A30
	v_cvt_pkrtz_f16_f32 v73, v28, v29                          // 000000008C70: D2960049 00023B1C
	v_accvgpr_read_b32 v28, a212                               // 000000008C78: D3D8401C 180001D4
	v_accvgpr_read_b32 v29, a213                               // 000000008C80: D3D8401D 180001D5
	v_mul_f32_e32 v28, s48, v28                                // 000000008C88: 0A383830
	v_mul_f32_e32 v29, s48, v29                                // 000000008C8C: 0A3A3A30
	v_cvt_pkrtz_f16_f32 v74, v28, v29                          // 000000008C90: D296004A 00023B1C
	v_accvgpr_read_b32 v28, a214                               // 000000008C98: D3D8401C 180001D6
	v_accvgpr_read_b32 v29, a215                               // 000000008CA0: D3D8401D 180001D7
	v_mul_f32_e32 v28, s48, v28                                // 000000008CA8: 0A383830
	v_mul_f32_e32 v29, s48, v29                                // 000000008CAC: 0A3A3A30
	v_cvt_pkrtz_f16_f32 v75, v28, v29                          // 000000008CB0: D296004B 00023B1C
	v_accvgpr_read_b32 v28, a216                               // 000000008CB8: D3D8401C 180001D8
	v_accvgpr_read_b32 v29, a217                               // 000000008CC0: D3D8401D 180001D9
	v_mul_f32_e32 v28, s48, v28                                // 000000008CC8: 0A383830
	v_mul_f32_e32 v29, s48, v29                                // 000000008CCC: 0A3A3A30
	v_cvt_pkrtz_f16_f32 v76, v28, v29                          // 000000008CD0: D296004C 00023B1C
	v_accvgpr_read_b32 v28, a218                               // 000000008CD8: D3D8401C 180001DA
	v_accvgpr_read_b32 v29, a219                               // 000000008CE0: D3D8401D 180001DB
	v_mul_f32_e32 v28, s48, v28                                // 000000008CE8: 0A383830
	v_mul_f32_e32 v29, s48, v29                                // 000000008CEC: 0A3A3A30
	v_cvt_pkrtz_f16_f32 v77, v28, v29                          // 000000008CF0: D296004D 00023B1C
	v_accvgpr_read_b32 v28, a220                               // 000000008CF8: D3D8401C 180001DC
	v_accvgpr_read_b32 v29, a221                               // 000000008D00: D3D8401D 180001DD
	v_mul_f32_e32 v28, s48, v28                                // 000000008D08: 0A383830
	v_mul_f32_e32 v29, s48, v29                                // 000000008D0C: 0A3A3A30
	v_cvt_pkrtz_f16_f32 v78, v28, v29                          // 000000008D10: D296004E 00023B1C
	v_accvgpr_read_b32 v28, a222                               // 000000008D18: D3D8401C 180001DE
	v_accvgpr_read_b32 v29, a223                               // 000000008D20: D3D8401D 180001DF
	v_mul_f32_e32 v28, s48, v28                                // 000000008D28: 0A383830
	v_mul_f32_e32 v29, s48, v29                                // 000000008D2C: 0A3A3A30
	v_cvt_pkrtz_f16_f32 v79, v28, v29                          // 000000008D30: D296004F 00023B1C
	ds_write_b64 v25, v[64:65] offset:16896                    // 000000008D38: D89A4200 00004019
	ds_write_b64 v25, v[66:67] offset:17424                    // 000000008D40: D89A4410 00004219
	ds_write_b64 v25, v[68:69] offset:17952                    // 000000008D48: D89A4620 00004419
	ds_write_b64 v25, v[70:71] offset:18480                    // 000000008D50: D89A4830 00004619
	ds_write_b64 v25, v[72:73] offset:19008                    // 000000008D58: D89A4A40 00004819
	ds_write_b64 v25, v[74:75] offset:19536                    // 000000008D60: D89A4C50 00004A19
	ds_write_b64 v25, v[76:77] offset:20064                    // 000000008D68: D89A4E60 00004C19
	ds_write_b64 v25, v[78:79] offset:20592                    // 000000008D70: D89A5070 00004E19
	s_waitcnt lgkmcnt(0)                                       // 000000008D78: BF8CC07F
	s_barrier                                                  // 000000008D7C: BF8A0000
	ds_read_b64 v[64:65], v24 offset:16896                     // 000000008D80: D8EC4200 40000018
	ds_read_b64 v[66:67], v24 offset:17024                     // 000000008D88: D8EC4280 42000018
	ds_read_b64 v[68:69], v24 offset:16928                     // 000000008D90: D8EC4220 44000018
	ds_read_b64 v[70:71], v24 offset:17056                     // 000000008D98: D8EC42A0 46000018
	ds_read_b64 v[72:73], v24 offset:16960                     // 000000008DA0: D8EC4240 48000018
	ds_read_b64 v[74:75], v24 offset:17088                     // 000000008DA8: D8EC42C0 4A000018
	ds_read_b64 v[76:77], v24 offset:16992                     // 000000008DB0: D8EC4260 4C000018
	ds_read_b64 v[78:79], v24 offset:17120                     // 000000008DB8: D8EC42E0 4E000018
	s_waitcnt lgkmcnt(0)                                       // 000000008DC0: BF8CC07F
	buffer_store_dwordx4 v[64:67], v5, s[36:39], 0 idxen       // 000000008DC4: E07C2000 80094005
	v_add_u32_e32 v5, s46, v5                                  // 000000008DCC: 680A0A2E
	buffer_store_dwordx4 v[68:71], v5, s[36:39], 0 idxen       // 000000008DD0: E07C2000 80094405
	v_add_u32_e32 v5, s46, v5                                  // 000000008DD8: 680A0A2E
	buffer_store_dwordx4 v[72:75], v5, s[36:39], 0 idxen       // 000000008DDC: E07C2000 80094805
	v_add_u32_e32 v5, s46, v5                                  // 000000008DE4: 680A0A2E
	buffer_store_dwordx4 v[76:79], v5, s[36:39], 0 idxen       // 000000008DE8: E07C2000 80094C05
	v_add_u32_e32 v5, s46, v5                                  // 000000008DF0: 680A0A2E
	s_mul_i32 s60, 12, s46                                     // 000000008DF4: 923C2E8C
	v_add_u32_e32 v5, s60, v5                                  // 000000008DF8: 680A0A3C
	s_barrier                                                  // 000000008DFC: BF8A0000
	s_cmp_ge_i32 2, s72                                        // 000000008E00: BF034882
	s_cbranch_scc1 label_14B6                                  // 000000008E04: BF8500B4
	v_accvgpr_read_b32 v28, a224                               // 000000008E08: D3D8401C 180001E0
	v_accvgpr_read_b32 v29, a225                               // 000000008E10: D3D8401D 180001E1
	v_mul_f32_e32 v28, s48, v28                                // 000000008E18: 0A383830
	v_mul_f32_e32 v29, s48, v29                                // 000000008E1C: 0A3A3A30
	v_cvt_pkrtz_f16_f32 v80, v28, v29                          // 000000008E20: D2960050 00023B1C
	v_accvgpr_read_b32 v28, a226                               // 000000008E28: D3D8401C 180001E2
	v_accvgpr_read_b32 v29, a227                               // 000000008E30: D3D8401D 180001E3
	v_mul_f32_e32 v28, s48, v28                                // 000000008E38: 0A383830
	v_mul_f32_e32 v29, s48, v29                                // 000000008E3C: 0A3A3A30
	v_cvt_pkrtz_f16_f32 v81, v28, v29                          // 000000008E40: D2960051 00023B1C
	v_accvgpr_read_b32 v28, a228                               // 000000008E48: D3D8401C 180001E4
	v_accvgpr_read_b32 v29, a229                               // 000000008E50: D3D8401D 180001E5
	v_mul_f32_e32 v28, s48, v28                                // 000000008E58: 0A383830
	v_mul_f32_e32 v29, s48, v29                                // 000000008E5C: 0A3A3A30
	v_cvt_pkrtz_f16_f32 v82, v28, v29                          // 000000008E60: D2960052 00023B1C
	v_accvgpr_read_b32 v28, a230                               // 000000008E68: D3D8401C 180001E6
	v_accvgpr_read_b32 v29, a231                               // 000000008E70: D3D8401D 180001E7
	v_mul_f32_e32 v28, s48, v28                                // 000000008E78: 0A383830
	v_mul_f32_e32 v29, s48, v29                                // 000000008E7C: 0A3A3A30
	v_cvt_pkrtz_f16_f32 v83, v28, v29                          // 000000008E80: D2960053 00023B1C
	v_accvgpr_read_b32 v28, a232                               // 000000008E88: D3D8401C 180001E8
	v_accvgpr_read_b32 v29, a233                               // 000000008E90: D3D8401D 180001E9
	v_mul_f32_e32 v28, s48, v28                                // 000000008E98: 0A383830
	v_mul_f32_e32 v29, s48, v29                                // 000000008E9C: 0A3A3A30
	v_cvt_pkrtz_f16_f32 v84, v28, v29                          // 000000008EA0: D2960054 00023B1C
	v_accvgpr_read_b32 v28, a234                               // 000000008EA8: D3D8401C 180001EA
	v_accvgpr_read_b32 v29, a235                               // 000000008EB0: D3D8401D 180001EB
	v_mul_f32_e32 v28, s48, v28                                // 000000008EB8: 0A383830
	v_mul_f32_e32 v29, s48, v29                                // 000000008EBC: 0A3A3A30
	v_cvt_pkrtz_f16_f32 v85, v28, v29                          // 000000008EC0: D2960055 00023B1C
	v_accvgpr_read_b32 v28, a236                               // 000000008EC8: D3D8401C 180001EC
	v_accvgpr_read_b32 v29, a237                               // 000000008ED0: D3D8401D 180001ED
	v_mul_f32_e32 v28, s48, v28                                // 000000008ED8: 0A383830
	v_mul_f32_e32 v29, s48, v29                                // 000000008EDC: 0A3A3A30
	v_cvt_pkrtz_f16_f32 v86, v28, v29                          // 000000008EE0: D2960056 00023B1C
	v_accvgpr_read_b32 v28, a238                               // 000000008EE8: D3D8401C 180001EE
	v_accvgpr_read_b32 v29, a239                               // 000000008EF0: D3D8401D 180001EF
	v_mul_f32_e32 v28, s48, v28                                // 000000008EF8: 0A383830
	v_mul_f32_e32 v29, s48, v29                                // 000000008EFC: 0A3A3A30
	v_cvt_pkrtz_f16_f32 v87, v28, v29                          // 000000008F00: D2960057 00023B1C
	v_accvgpr_read_b32 v28, a240                               // 000000008F08: D3D8401C 180001F0
	v_accvgpr_read_b32 v29, a241                               // 000000008F10: D3D8401D 180001F1
	v_mul_f32_e32 v28, s48, v28                                // 000000008F18: 0A383830
	v_mul_f32_e32 v29, s48, v29                                // 000000008F1C: 0A3A3A30
	v_cvt_pkrtz_f16_f32 v88, v28, v29                          // 000000008F20: D2960058 00023B1C
	v_accvgpr_read_b32 v28, a242                               // 000000008F28: D3D8401C 180001F2
	v_accvgpr_read_b32 v29, a243                               // 000000008F30: D3D8401D 180001F3
	v_mul_f32_e32 v28, s48, v28                                // 000000008F38: 0A383830
	v_mul_f32_e32 v29, s48, v29                                // 000000008F3C: 0A3A3A30
	v_cvt_pkrtz_f16_f32 v89, v28, v29                          // 000000008F40: D2960059 00023B1C
	v_accvgpr_read_b32 v28, a244                               // 000000008F48: D3D8401C 180001F4
	v_accvgpr_read_b32 v29, a245                               // 000000008F50: D3D8401D 180001F5
	v_mul_f32_e32 v28, s48, v28                                // 000000008F58: 0A383830
	v_mul_f32_e32 v29, s48, v29                                // 000000008F5C: 0A3A3A30
	v_cvt_pkrtz_f16_f32 v90, v28, v29                          // 000000008F60: D296005A 00023B1C
	v_accvgpr_read_b32 v28, a246                               // 000000008F68: D3D8401C 180001F6
	v_accvgpr_read_b32 v29, a247                               // 000000008F70: D3D8401D 180001F7
	v_mul_f32_e32 v28, s48, v28                                // 000000008F78: 0A383830
	v_mul_f32_e32 v29, s48, v29                                // 000000008F7C: 0A3A3A30
	v_cvt_pkrtz_f16_f32 v91, v28, v29                          // 000000008F80: D296005B 00023B1C
	v_accvgpr_read_b32 v28, a248                               // 000000008F88: D3D8401C 180001F8
	v_accvgpr_read_b32 v29, a249                               // 000000008F90: D3D8401D 180001F9
	v_mul_f32_e32 v28, s48, v28                                // 000000008F98: 0A383830
	v_mul_f32_e32 v29, s48, v29                                // 000000008F9C: 0A3A3A30
	v_cvt_pkrtz_f16_f32 v92, v28, v29                          // 000000008FA0: D296005C 00023B1C
	v_accvgpr_read_b32 v28, a250                               // 000000008FA8: D3D8401C 180001FA
	v_accvgpr_read_b32 v29, a251                               // 000000008FB0: D3D8401D 180001FB
	v_mul_f32_e32 v28, s48, v28                                // 000000008FB8: 0A383830
	v_mul_f32_e32 v29, s48, v29                                // 000000008FBC: 0A3A3A30
	v_cvt_pkrtz_f16_f32 v93, v28, v29                          // 000000008FC0: D296005D 00023B1C
	v_accvgpr_read_b32 v28, a252                               // 000000008FC8: D3D8401C 180001FC
	v_accvgpr_read_b32 v29, a253                               // 000000008FD0: D3D8401D 180001FD
	v_mul_f32_e32 v28, s48, v28                                // 000000008FD8: 0A383830
	v_mul_f32_e32 v29, s48, v29                                // 000000008FDC: 0A3A3A30
	v_cvt_pkrtz_f16_f32 v94, v28, v29                          // 000000008FE0: D296005E 00023B1C
	v_accvgpr_read_b32 v28, a254                               // 000000008FE8: D3D8401C 180001FE
	v_accvgpr_read_b32 v29, a255                               // 000000008FF0: D3D8401D 180001FF
	v_mul_f32_e32 v28, s48, v28                                // 000000008FF8: 0A383830
	v_mul_f32_e32 v29, s48, v29                                // 000000008FFC: 0A3A3A30
	v_cvt_pkrtz_f16_f32 v95, v28, v29                          // 000000009000: D296005F 00023B1C
	ds_write_b64 v25, v[80:81] offset:33792                    // 000000009008: D89A8400 00005019
	ds_write_b64 v25, v[82:83] offset:34320                    // 000000009010: D89A8610 00005219
	ds_write_b64 v25, v[84:85] offset:34848                    // 000000009018: D89A8820 00005419
	ds_write_b64 v25, v[86:87] offset:35376                    // 000000009020: D89A8A30 00005619
	ds_write_b64 v25, v[88:89] offset:35904                    // 000000009028: D89A8C40 00005819
	ds_write_b64 v25, v[90:91] offset:36432                    // 000000009030: D89A8E50 00005A19
	ds_write_b64 v25, v[92:93] offset:36960                    // 000000009038: D89A9060 00005C19
	ds_write_b64 v25, v[94:95] offset:37488                    // 000000009040: D89A9270 00005E19
	s_waitcnt lgkmcnt(0)                                       // 000000009048: BF8CC07F
	s_barrier                                                  // 00000000904C: BF8A0000
	ds_read_b64 v[80:81], v24 offset:33792                     // 000000009050: D8EC8400 50000018
	ds_read_b64 v[82:83], v24 offset:33920                     // 000000009058: D8EC8480 52000018
	ds_read_b64 v[84:85], v24 offset:33824                     // 000000009060: D8EC8420 54000018
	ds_read_b64 v[86:87], v24 offset:33952                     // 000000009068: D8EC84A0 56000018
	ds_read_b64 v[88:89], v24 offset:33856                     // 000000009070: D8EC8440 58000018
	ds_read_b64 v[90:91], v24 offset:33984                     // 000000009078: D8EC84C0 5A000018
	ds_read_b64 v[92:93], v24 offset:33888                     // 000000009080: D8EC8460 5C000018
	ds_read_b64 v[94:95], v24 offset:34016                     // 000000009088: D8EC84E0 5E000018
	s_waitcnt lgkmcnt(0)                                       // 000000009090: BF8CC07F
	buffer_store_dwordx4 v[80:83], v5, s[36:39], 0 idxen       // 000000009094: E07C2000 80095005
	v_add_u32_e32 v5, s46, v5                                  // 00000000909C: 680A0A2E
	buffer_store_dwordx4 v[84:87], v5, s[36:39], 0 idxen       // 0000000090A0: E07C2000 80095405
	v_add_u32_e32 v5, s46, v5                                  // 0000000090A8: 680A0A2E
	buffer_store_dwordx4 v[88:91], v5, s[36:39], 0 idxen       // 0000000090AC: E07C2000 80095805
	v_add_u32_e32 v5, s46, v5                                  // 0000000090B4: 680A0A2E
	buffer_store_dwordx4 v[92:95], v5, s[36:39], 0 idxen       // 0000000090B8: E07C2000 80095C05
	v_add_u32_e32 v5, s46, v5                                  // 0000000090C0: 680A0A2E
	s_mul_i32 s60, 12, s46                                     // 0000000090C4: 923C2E8C
	v_add_u32_e32 v5, s60, v5                                  // 0000000090C8: 680A0A3C
	s_barrier                                                  // 0000000090CC: BF8A0000
	s_cmp_ge_i32 3, s72                                        // 0000000090D0: BF034883
	s_cbranch_scc1 label_14B6                                  // 0000000090D4: BF850000

00000000000090d8 <label_14B6>:
	v_mov_b32_e32 v28, v152                                    // 0000000090D8: 7E380398
	v_mov_b32_e32 v29, v153                                    // 0000000090DC: 7E3A0399
	v_cvt_pkrtz_f16_f32 v152, v28, v29                         // 0000000090E0: D2960098 00023B1C
	v_mov_b32_e32 v28, v154                                    // 0000000090E8: 7E38039A
	v_mov_b32_e32 v29, v155                                    // 0000000090EC: 7E3A039B
	v_cvt_pkrtz_f16_f32 v153, v28, v29                         // 0000000090F0: D2960099 00023B1C
	v_mov_b32_e32 v28, v156                                    // 0000000090F8: 7E38039C
	v_mov_b32_e32 v29, v157                                    // 0000000090FC: 7E3A039D
	v_cvt_pkrtz_f16_f32 v154, v28, v29                         // 000000009100: D296009A 00023B1C
	v_mov_b32_e32 v28, v158                                    // 000000009108: 7E38039E
	v_mov_b32_e32 v29, v159                                    // 00000000910C: 7E3A039F
	v_cvt_pkrtz_f16_f32 v155, v28, v29                         // 000000009110: D296009B 00023B1C
	v_mov_b32_e32 v28, v160                                    // 000000009118: 7E3803A0
	v_mov_b32_e32 v29, v161                                    // 00000000911C: 7E3A03A1
	v_cvt_pkrtz_f16_f32 v156, v28, v29                         // 000000009120: D296009C 00023B1C
	v_mov_b32_e32 v28, v162                                    // 000000009128: 7E3803A2
	v_mov_b32_e32 v29, v163                                    // 00000000912C: 7E3A03A3
	v_cvt_pkrtz_f16_f32 v157, v28, v29                         // 000000009130: D296009D 00023B1C
	v_mov_b32_e32 v28, v164                                    // 000000009138: 7E3803A4
	v_mov_b32_e32 v29, v165                                    // 00000000913C: 7E3A03A5
	v_cvt_pkrtz_f16_f32 v158, v28, v29                         // 000000009140: D296009E 00023B1C
	v_mov_b32_e32 v28, v166                                    // 000000009148: 7E3803A6
	v_mov_b32_e32 v29, v167                                    // 00000000914C: 7E3A03A7
	v_cvt_pkrtz_f16_f32 v159, v28, v29                         // 000000009150: D296009F 00023B1C
	v_mov_b32_e32 v28, v168                                    // 000000009158: 7E3803A8
	v_mov_b32_e32 v29, v169                                    // 00000000915C: 7E3A03A9
	v_cvt_pkrtz_f16_f32 v160, v28, v29                         // 000000009160: D29600A0 00023B1C
	v_mov_b32_e32 v28, v170                                    // 000000009168: 7E3803AA
	v_mov_b32_e32 v29, v171                                    // 00000000916C: 7E3A03AB
	v_cvt_pkrtz_f16_f32 v161, v28, v29                         // 000000009170: D29600A1 00023B1C
	v_mov_b32_e32 v28, v172                                    // 000000009178: 7E3803AC
	v_mov_b32_e32 v29, v173                                    // 00000000917C: 7E3A03AD
	v_cvt_pkrtz_f16_f32 v162, v28, v29                         // 000000009180: D29600A2 00023B1C
	v_mov_b32_e32 v28, v174                                    // 000000009188: 7E3803AE
	v_mov_b32_e32 v29, v175                                    // 00000000918C: 7E3A03AF
	v_cvt_pkrtz_f16_f32 v163, v28, v29                         // 000000009190: D29600A3 00023B1C
	v_mov_b32_e32 v28, v176                                    // 000000009198: 7E3803B0
	v_mov_b32_e32 v29, v177                                    // 00000000919C: 7E3A03B1
	v_cvt_pkrtz_f16_f32 v164, v28, v29                         // 0000000091A0: D29600A4 00023B1C
	v_mov_b32_e32 v28, v178                                    // 0000000091A8: 7E3803B2
	v_mov_b32_e32 v29, v179                                    // 0000000091AC: 7E3A03B3
	v_cvt_pkrtz_f16_f32 v165, v28, v29                         // 0000000091B0: D29600A5 00023B1C
	v_mov_b32_e32 v28, v180                                    // 0000000091B8: 7E3803B4
	v_mov_b32_e32 v29, v181                                    // 0000000091BC: 7E3A03B5
	v_cvt_pkrtz_f16_f32 v166, v28, v29                         // 0000000091C0: D29600A6 00023B1C
	v_mov_b32_e32 v28, v182                                    // 0000000091C8: 7E3803B6
	v_mov_b32_e32 v29, v183                                    // 0000000091CC: 7E3A03B7
	v_cvt_pkrtz_f16_f32 v167, v28, v29                         // 0000000091D0: D29600A7 00023B1C
	ds_write_b64 v25, v[152:153]                               // 0000000091D8: D89A0000 00009819
	ds_write_b64 v25, v[154:155] offset:528                    // 0000000091E0: D89A0210 00009A19
	ds_write_b64 v25, v[156:157] offset:1056                   // 0000000091E8: D89A0420 00009C19
	ds_write_b64 v25, v[158:159] offset:1584                   // 0000000091F0: D89A0630 00009E19
	ds_write_b64 v25, v[160:161] offset:2112                   // 0000000091F8: D89A0840 0000A019
	ds_write_b64 v25, v[162:163] offset:2640                   // 000000009200: D89A0A50 0000A219
	ds_write_b64 v25, v[164:165] offset:3168                   // 000000009208: D89A0C60 0000A419
	ds_write_b64 v25, v[166:167] offset:3696                   // 000000009210: D89A0E70 0000A619
	s_waitcnt lgkmcnt(0)                                       // 000000009218: BF8CC07F
	s_barrier                                                  // 00000000921C: BF8A0000
	ds_read_b64 v[152:153], v24                                // 000000009220: D8EC0000 98000018
	ds_read_b64 v[154:155], v24 offset:128                     // 000000009228: D8EC0080 9A000018
	ds_read_b64 v[156:157], v24 offset:32                      // 000000009230: D8EC0020 9C000018
	ds_read_b64 v[158:159], v24 offset:160                     // 000000009238: D8EC00A0 9E000018
	ds_read_b64 v[160:161], v24 offset:64                      // 000000009240: D8EC0040 A0000018
	ds_read_b64 v[162:163], v24 offset:192                     // 000000009248: D8EC00C0 A2000018
	ds_read_b64 v[164:165], v24 offset:96                      // 000000009250: D8EC0060 A4000018
	ds_read_b64 v[166:167], v24 offset:224                     // 000000009258: D8EC00E0 A6000018
	s_waitcnt lgkmcnt(0)                                       // 000000009260: BF8CC07F
	buffer_store_dwordx4 v[152:155], v6, s[40:43], 0 idxen     // 000000009264: E07C2000 800A9806
	v_add_u32_e32 v6, s46, v6                                  // 00000000926C: 680C0C2E
	buffer_store_dwordx4 v[156:159], v6, s[40:43], 0 idxen     // 000000009270: E07C2000 800A9C06
	v_add_u32_e32 v6, s46, v6                                  // 000000009278: 680C0C2E
	buffer_store_dwordx4 v[160:163], v6, s[40:43], 0 idxen     // 00000000927C: E07C2000 800AA006
	v_add_u32_e32 v6, s46, v6                                  // 000000009284: 680C0C2E
	buffer_store_dwordx4 v[164:167], v6, s[40:43], 0 idxen     // 000000009288: E07C2000 800AA406
	v_add_u32_e32 v6, s46, v6                                  // 000000009290: 680C0C2E
	s_mul_i32 s60, 12, s46                                     // 000000009294: 923C2E8C
	v_add_u32_e32 v6, s60, v6                                  // 000000009298: 680C0C3C
	s_cmp_ge_i32 1, s72                                        // 00000000929C: BF034881
	s_cbranch_scc1 label_160F                                  // 0000000092A0: BF8500E6
	v_mov_b32_e32 v28, v184                                    // 0000000092A4: 7E3803B8
	v_mov_b32_e32 v29, v185                                    // 0000000092A8: 7E3A03B9
	v_cvt_pkrtz_f16_f32 v168, v28, v29                         // 0000000092AC: D29600A8 00023B1C
	v_mov_b32_e32 v28, v186                                    // 0000000092B4: 7E3803BA
	v_mov_b32_e32 v29, v187                                    // 0000000092B8: 7E3A03BB
	v_cvt_pkrtz_f16_f32 v169, v28, v29                         // 0000000092BC: D29600A9 00023B1C
	v_mov_b32_e32 v28, v188                                    // 0000000092C4: 7E3803BC
	v_mov_b32_e32 v29, v189                                    // 0000000092C8: 7E3A03BD
	v_cvt_pkrtz_f16_f32 v170, v28, v29                         // 0000000092CC: D29600AA 00023B1C
	v_mov_b32_e32 v28, v190                                    // 0000000092D4: 7E3803BE
	v_mov_b32_e32 v29, v191                                    // 0000000092D8: 7E3A03BF
	v_cvt_pkrtz_f16_f32 v171, v28, v29                         // 0000000092DC: D29600AB 00023B1C
	v_mov_b32_e32 v28, v192                                    // 0000000092E4: 7E3803C0
	v_mov_b32_e32 v29, v193                                    // 0000000092E8: 7E3A03C1
	v_cvt_pkrtz_f16_f32 v172, v28, v29                         // 0000000092EC: D29600AC 00023B1C
	v_mov_b32_e32 v28, v194                                    // 0000000092F4: 7E3803C2
	v_mov_b32_e32 v29, v195                                    // 0000000092F8: 7E3A03C3
	v_cvt_pkrtz_f16_f32 v173, v28, v29                         // 0000000092FC: D29600AD 00023B1C
	v_mov_b32_e32 v28, v196                                    // 000000009304: 7E3803C4
	v_mov_b32_e32 v29, v197                                    // 000000009308: 7E3A03C5
	v_cvt_pkrtz_f16_f32 v174, v28, v29                         // 00000000930C: D29600AE 00023B1C
	v_mov_b32_e32 v28, v198                                    // 000000009314: 7E3803C6
	v_mov_b32_e32 v29, v199                                    // 000000009318: 7E3A03C7
	v_cvt_pkrtz_f16_f32 v175, v28, v29                         // 00000000931C: D29600AF 00023B1C
	v_mov_b32_e32 v28, v200                                    // 000000009324: 7E3803C8
	v_mov_b32_e32 v29, v201                                    // 000000009328: 7E3A03C9
	v_cvt_pkrtz_f16_f32 v176, v28, v29                         // 00000000932C: D29600B0 00023B1C
	v_mov_b32_e32 v28, v202                                    // 000000009334: 7E3803CA
	v_mov_b32_e32 v29, v203                                    // 000000009338: 7E3A03CB
	v_cvt_pkrtz_f16_f32 v177, v28, v29                         // 00000000933C: D29600B1 00023B1C
	v_mov_b32_e32 v28, v204                                    // 000000009344: 7E3803CC
	v_mov_b32_e32 v29, v205                                    // 000000009348: 7E3A03CD
	v_cvt_pkrtz_f16_f32 v178, v28, v29                         // 00000000934C: D29600B2 00023B1C
	v_mov_b32_e32 v28, v206                                    // 000000009354: 7E3803CE
	v_mov_b32_e32 v29, v207                                    // 000000009358: 7E3A03CF
	v_cvt_pkrtz_f16_f32 v179, v28, v29                         // 00000000935C: D29600B3 00023B1C
	v_mov_b32_e32 v28, v208                                    // 000000009364: 7E3803D0
	v_mov_b32_e32 v29, v209                                    // 000000009368: 7E3A03D1
	v_cvt_pkrtz_f16_f32 v180, v28, v29                         // 00000000936C: D29600B4 00023B1C
	v_mov_b32_e32 v28, v210                                    // 000000009374: 7E3803D2
	v_mov_b32_e32 v29, v211                                    // 000000009378: 7E3A03D3
	v_cvt_pkrtz_f16_f32 v181, v28, v29                         // 00000000937C: D29600B5 00023B1C
	v_mov_b32_e32 v28, v212                                    // 000000009384: 7E3803D4
	v_mov_b32_e32 v29, v213                                    // 000000009388: 7E3A03D5
	v_cvt_pkrtz_f16_f32 v182, v28, v29                         // 00000000938C: D29600B6 00023B1C
	v_mov_b32_e32 v28, v214                                    // 000000009394: 7E3803D6
	v_mov_b32_e32 v29, v215                                    // 000000009398: 7E3A03D7
	v_cvt_pkrtz_f16_f32 v183, v28, v29                         // 00000000939C: D29600B7 00023B1C
	ds_write_b64 v25, v[168:169] offset:16896                  // 0000000093A4: D89A4200 0000A819
	ds_write_b64 v25, v[170:171] offset:17424                  // 0000000093AC: D89A4410 0000AA19
	ds_write_b64 v25, v[172:173] offset:17952                  // 0000000093B4: D89A4620 0000AC19
	ds_write_b64 v25, v[174:175] offset:18480                  // 0000000093BC: D89A4830 0000AE19
	ds_write_b64 v25, v[176:177] offset:19008                  // 0000000093C4: D89A4A40 0000B019
	ds_write_b64 v25, v[178:179] offset:19536                  // 0000000093CC: D89A4C50 0000B219
	ds_write_b64 v25, v[180:181] offset:20064                  // 0000000093D4: D89A4E60 0000B419
	ds_write_b64 v25, v[182:183] offset:20592                  // 0000000093DC: D89A5070 0000B619
	s_waitcnt lgkmcnt(0)                                       // 0000000093E4: BF8CC07F
	s_barrier                                                  // 0000000093E8: BF8A0000
	ds_read_b64 v[168:169], v24 offset:16896                   // 0000000093EC: D8EC4200 A8000018
	ds_read_b64 v[170:171], v24 offset:17024                   // 0000000093F4: D8EC4280 AA000018
	ds_read_b64 v[172:173], v24 offset:16928                   // 0000000093FC: D8EC4220 AC000018
	ds_read_b64 v[174:175], v24 offset:17056                   // 000000009404: D8EC42A0 AE000018
	ds_read_b64 v[176:177], v24 offset:16960                   // 00000000940C: D8EC4240 B0000018
	ds_read_b64 v[178:179], v24 offset:17088                   // 000000009414: D8EC42C0 B2000018
	ds_read_b64 v[180:181], v24 offset:16992                   // 00000000941C: D8EC4260 B4000018
	ds_read_b64 v[182:183], v24 offset:17120                   // 000000009424: D8EC42E0 B6000018
	s_waitcnt lgkmcnt(0)                                       // 00000000942C: BF8CC07F
	buffer_store_dwordx4 v[168:171], v6, s[40:43], 0 idxen     // 000000009430: E07C2000 800AA806
	v_add_u32_e32 v6, s46, v6                                  // 000000009438: 680C0C2E
	buffer_store_dwordx4 v[172:175], v6, s[40:43], 0 idxen     // 00000000943C: E07C2000 800AAC06
	v_add_u32_e32 v6, s46, v6                                  // 000000009444: 680C0C2E
	buffer_store_dwordx4 v[176:179], v6, s[40:43], 0 idxen     // 000000009448: E07C2000 800AB006
	v_add_u32_e32 v6, s46, v6                                  // 000000009450: 680C0C2E
	buffer_store_dwordx4 v[180:183], v6, s[40:43], 0 idxen     // 000000009454: E07C2000 800AB406
	v_add_u32_e32 v6, s46, v6                                  // 00000000945C: 680C0C2E
	s_mul_i32 s60, 12, s46                                     // 000000009460: 923C2E8C
	v_add_u32_e32 v6, s60, v6                                  // 000000009464: 680C0C3C
	s_cmp_ge_i32 2, s72                                        // 000000009468: BF034882
	s_cbranch_scc1 label_160F                                  // 00000000946C: BF850073
	v_mov_b32_e32 v28, v216                                    // 000000009470: 7E3803D8
	v_mov_b32_e32 v29, v217                                    // 000000009474: 7E3A03D9
	v_cvt_pkrtz_f16_f32 v184, v28, v29                         // 000000009478: D29600B8 00023B1C
	v_mov_b32_e32 v28, v218                                    // 000000009480: 7E3803DA
	v_mov_b32_e32 v29, v219                                    // 000000009484: 7E3A03DB
	v_cvt_pkrtz_f16_f32 v185, v28, v29                         // 000000009488: D29600B9 00023B1C
	v_mov_b32_e32 v28, v220                                    // 000000009490: 7E3803DC
	v_mov_b32_e32 v29, v221                                    // 000000009494: 7E3A03DD
	v_cvt_pkrtz_f16_f32 v186, v28, v29                         // 000000009498: D29600BA 00023B1C
	v_mov_b32_e32 v28, v222                                    // 0000000094A0: 7E3803DE
	v_mov_b32_e32 v29, v223                                    // 0000000094A4: 7E3A03DF
	v_cvt_pkrtz_f16_f32 v187, v28, v29                         // 0000000094A8: D29600BB 00023B1C
	v_mov_b32_e32 v28, v224                                    // 0000000094B0: 7E3803E0
	v_mov_b32_e32 v29, v225                                    // 0000000094B4: 7E3A03E1
	v_cvt_pkrtz_f16_f32 v188, v28, v29                         // 0000000094B8: D29600BC 00023B1C
	v_mov_b32_e32 v28, v226                                    // 0000000094C0: 7E3803E2
	v_mov_b32_e32 v29, v227                                    // 0000000094C4: 7E3A03E3
	v_cvt_pkrtz_f16_f32 v189, v28, v29                         // 0000000094C8: D29600BD 00023B1C
	v_mov_b32_e32 v28, v228                                    // 0000000094D0: 7E3803E4
	v_mov_b32_e32 v29, v229                                    // 0000000094D4: 7E3A03E5
	v_cvt_pkrtz_f16_f32 v190, v28, v29                         // 0000000094D8: D29600BE 00023B1C
	v_mov_b32_e32 v28, v230                                    // 0000000094E0: 7E3803E6
	v_mov_b32_e32 v29, v231                                    // 0000000094E4: 7E3A03E7
	v_cvt_pkrtz_f16_f32 v191, v28, v29                         // 0000000094E8: D29600BF 00023B1C
	v_mov_b32_e32 v28, v232                                    // 0000000094F0: 7E3803E8
	v_mov_b32_e32 v29, v233                                    // 0000000094F4: 7E3A03E9
	v_cvt_pkrtz_f16_f32 v192, v28, v29                         // 0000000094F8: D29600C0 00023B1C
	v_mov_b32_e32 v28, v234                                    // 000000009500: 7E3803EA
	v_mov_b32_e32 v29, v235                                    // 000000009504: 7E3A03EB
	v_cvt_pkrtz_f16_f32 v193, v28, v29                         // 000000009508: D29600C1 00023B1C
	v_mov_b32_e32 v28, v236                                    // 000000009510: 7E3803EC
	v_mov_b32_e32 v29, v237                                    // 000000009514: 7E3A03ED
	v_cvt_pkrtz_f16_f32 v194, v28, v29                         // 000000009518: D29600C2 00023B1C
	v_mov_b32_e32 v28, v238                                    // 000000009520: 7E3803EE
	v_mov_b32_e32 v29, v239                                    // 000000009524: 7E3A03EF
	v_cvt_pkrtz_f16_f32 v195, v28, v29                         // 000000009528: D29600C3 00023B1C
	v_mov_b32_e32 v28, v240                                    // 000000009530: 7E3803F0
	v_mov_b32_e32 v29, v241                                    // 000000009534: 7E3A03F1
	v_cvt_pkrtz_f16_f32 v196, v28, v29                         // 000000009538: D29600C4 00023B1C
	v_mov_b32_e32 v28, v242                                    // 000000009540: 7E3803F2
	v_mov_b32_e32 v29, v243                                    // 000000009544: 7E3A03F3
	v_cvt_pkrtz_f16_f32 v197, v28, v29                         // 000000009548: D29600C5 00023B1C
	v_mov_b32_e32 v28, v244                                    // 000000009550: 7E3803F4
	v_mov_b32_e32 v29, v245                                    // 000000009554: 7E3A03F5
	v_cvt_pkrtz_f16_f32 v198, v28, v29                         // 000000009558: D29600C6 00023B1C
	v_mov_b32_e32 v28, v246                                    // 000000009560: 7E3803F6
	v_mov_b32_e32 v29, v247                                    // 000000009564: 7E3A03F7
	v_cvt_pkrtz_f16_f32 v199, v28, v29                         // 000000009568: D29600C7 00023B1C
	ds_write_b64 v25, v[184:185] offset:33792                  // 000000009570: D89A8400 0000B819
	ds_write_b64 v25, v[186:187] offset:34320                  // 000000009578: D89A8610 0000BA19
	ds_write_b64 v25, v[188:189] offset:34848                  // 000000009580: D89A8820 0000BC19
	ds_write_b64 v25, v[190:191] offset:35376                  // 000000009588: D89A8A30 0000BE19
	ds_write_b64 v25, v[192:193] offset:35904                  // 000000009590: D89A8C40 0000C019
	ds_write_b64 v25, v[194:195] offset:36432                  // 000000009598: D89A8E50 0000C219
	ds_write_b64 v25, v[196:197] offset:36960                  // 0000000095A0: D89A9060 0000C419
	ds_write_b64 v25, v[198:199] offset:37488                  // 0000000095A8: D89A9270 0000C619
	s_waitcnt lgkmcnt(0)                                       // 0000000095B0: BF8CC07F
	s_barrier                                                  // 0000000095B4: BF8A0000
	ds_read_b64 v[184:185], v24 offset:33792                   // 0000000095B8: D8EC8400 B8000018
	ds_read_b64 v[186:187], v24 offset:33920                   // 0000000095C0: D8EC8480 BA000018
	ds_read_b64 v[188:189], v24 offset:33824                   // 0000000095C8: D8EC8420 BC000018
	ds_read_b64 v[190:191], v24 offset:33952                   // 0000000095D0: D8EC84A0 BE000018
	ds_read_b64 v[192:193], v24 offset:33856                   // 0000000095D8: D8EC8440 C0000018
	ds_read_b64 v[194:195], v24 offset:33984                   // 0000000095E0: D8EC84C0 C2000018
	ds_read_b64 v[196:197], v24 offset:33888                   // 0000000095E8: D8EC8460 C4000018
	ds_read_b64 v[198:199], v24 offset:34016                   // 0000000095F0: D8EC84E0 C6000018
	s_waitcnt lgkmcnt(0)                                       // 0000000095F8: BF8CC07F
	buffer_store_dwordx4 v[184:187], v6, s[40:43], 0 idxen     // 0000000095FC: E07C2000 800AB806
	v_add_u32_e32 v6, s46, v6                                  // 000000009604: 680C0C2E
	buffer_store_dwordx4 v[188:191], v6, s[40:43], 0 idxen     // 000000009608: E07C2000 800ABC06
	v_add_u32_e32 v6, s46, v6                                  // 000000009610: 680C0C2E
	buffer_store_dwordx4 v[192:195], v6, s[40:43], 0 idxen     // 000000009614: E07C2000 800AC006
	v_add_u32_e32 v6, s46, v6                                  // 00000000961C: 680C0C2E
	buffer_store_dwordx4 v[196:199], v6, s[40:43], 0 idxen     // 000000009620: E07C2000 800AC406
	v_add_u32_e32 v6, s46, v6                                  // 000000009628: 680C0C2E
	s_mul_i32 s60, 12, s46                                     // 00000000962C: 923C2E8C
	v_add_u32_e32 v6, s60, v6                                  // 000000009630: 680C0C3C
	s_cmp_ge_i32 3, s72                                        // 000000009634: BF034883
	s_cbranch_scc1 label_160F                                  // 000000009638: BF850000

000000000000963c <label_160F>:
	s_waitcnt vmcnt(0) expcnt(0) lgkmcnt(0)                    // 00000000963C: BF8C0000
	s_mov_b32 s32, s88                                         // 000000009640: BEA00058
	s_mov_b32 s33, s89                                         // 000000009644: BEA10059
	s_sub_i32 s60, s77, 1                                      // 000000009648: 81BC814D
	s_sub_i32 s2, s60, s2                                      // 00000000964C: 8182023C
	s_addk_i32 s75, 0x1                                        // 000000009650: B74B0001
	s_cmp_lt_i32 s75, s76                                      // 000000009654: BF044C4B
	s_cbranch_scc1 label_00F9                                  // 000000009658: BF85EAE2
	s_endpgm                                                   // 00000000965C: BF810000
